;; amdgpu-corpus repo=ROCm/rocBLAS kind=compiled arch=gfx1100 opt=O3
	.text
	.amdgcn_target "amdgcn-amd-amdhsa--gfx1100"
	.amdhsa_code_object_version 6
	.section	.text._ZL18rocblas_trtri_fillILi128EfPfEvP15_rocblas_handle13rocblas_fill_ililT1_llii,"axG",@progbits,_ZL18rocblas_trtri_fillILi128EfPfEvP15_rocblas_handle13rocblas_fill_ililT1_llii,comdat
	.globl	_ZL18rocblas_trtri_fillILi128EfPfEvP15_rocblas_handle13rocblas_fill_ililT1_llii ; -- Begin function _ZL18rocblas_trtri_fillILi128EfPfEvP15_rocblas_handle13rocblas_fill_ililT1_llii
	.p2align	8
	.type	_ZL18rocblas_trtri_fillILi128EfPfEvP15_rocblas_handle13rocblas_fill_ililT1_llii,@function
_ZL18rocblas_trtri_fillILi128EfPfEvP15_rocblas_handle13rocblas_fill_ililT1_llii: ; @_ZL18rocblas_trtri_fillILi128EfPfEvP15_rocblas_handle13rocblas_fill_ililT1_llii
; %bb.0:
	s_clause 0x1
	s_load_b64 s[12:13], s[0:1], 0x10
	s_load_b32 s3, s[0:1], 0x40
	s_mov_b32 s2, s15
	s_mov_b32 s15, 0
	s_delay_alu instid0(SALU_CYCLE_1) | instskip(NEXT) | instid1(SALU_CYCLE_1)
	s_lshl_b64 s[4:5], s[14:15], 7
	v_mov_b32_e32 v1, s5
	v_or_b32_e32 v0, s4, v0
	s_waitcnt lgkmcnt(0)
	s_mul_i32 s4, s3, s13
	s_mul_hi_u32 s5, s3, s12
	s_ashr_i32 s6, s3, 31
	s_add_i32 s4, s5, s4
	s_mul_i32 s6, s6, s12
	s_mul_i32 s16, s3, s12
	s_add_i32 s17, s4, s6
	s_mov_b32 s3, exec_lo
	v_cmpx_gt_u64_e64 s[16:17], v[0:1]
	s_cbranch_execz .LBB0_16
; %bb.1:
	s_clause 0x2
	s_load_b256 s[4:11], s[0:1], 0x20
	s_load_b32 s18, s[0:1], 0x18
	s_load_b64 s[20:21], s[0:1], 0x8
	v_cvt_f32_u32_e32 v4, s12
	v_cvt_f32_u32_e32 v2, s12
	v_cvt_f32_u32_e32 v3, s13
	s_clause 0x1
	s_load_b32 s14, s[0:1], 0x48
	s_load_b32 s0, s[0:1], 0x54
	v_rcp_iflag_f32_e32 v4, v4
	v_fmamk_f32 v5, v3, 0x4f800000, v2
	s_delay_alu instid0(VALU_DEP_1)
	v_rcp_f32_e32 v5, v5
	s_waitcnt_depctr 0xfff
	v_mul_f32_e32 v4, 0x4f7ffffe, v4
	s_waitcnt lgkmcnt(0)
	s_mul_i32 s3, s2, s11
	s_mul_hi_u32 s11, s2, s10
	s_mul_i32 s2, s2, s10
	s_add_i32 s3, s11, s3
	s_ashr_i32 s19, s18, 31
	s_lshl_b64 s[2:3], s[2:3], 2
	v_cvt_u32_f32_e32 v6, v4
	s_add_u32 s6, s6, s2
	s_addc_u32 s7, s7, s3
	s_lshl_b64 s[2:3], s[8:9], 2
	v_mul_f32_e32 v5, 0x5f7ffffc, v5
	s_add_u32 s6, s6, s2
	s_addc_u32 s7, s7, s3
	s_add_i32 s2, s21, -2
	s_ashr_i32 s8, s21, 31
	v_cvt_f64_i32_e32 v[2:3], s2
	s_add_i32 s2, s21, -1
	v_mul_f32_e32 v4, 0x2f800000, v5
	s_mul_hi_i32 s3, s2, s21
	s_mul_i32 s2, s2, s21
	s_delay_alu instid0(SALU_CYCLE_1) | instskip(NEXT) | instid1(VALU_DEP_1)
	s_lshl_b64 s[10:11], s[2:3], 2
	v_trunc_f32_e32 v8, v4
	s_add_u32 s1, s10, -7
	s_addc_u32 s9, s11, -1
	s_sub_i32 s10, 0, s12
	v_mov_b32_e32 v4, 0
	v_mul_lo_u32 v7, s10, v6
	v_fmamk_f32 v5, v8, 0xcf800000, v5
	v_cvt_u32_f32_e32 v12, v8
	s_and_b32 s0, s0, 0xffff
	s_mov_b32 s10, s21
	s_lshr_b64 s[2:3], s[2:3], 1
	v_cvt_u32_f32_e32 v11, v5
	s_mul_hi_u32 s11, s0, s14
	v_mul_hi_u32 v7, v6, v7
	s_mul_i32 s14, s0, s14
	s_delay_alu instid0(VALU_DEP_1)
	v_add_nc_u32_e32 v13, v6, v7
	s_branch .LBB0_3
.LBB0_2:                                ;   in Loop: Header=BB0_3 Depth=1
	v_add_co_u32 v0, vcc_lo, v0, s14
	v_add_co_ci_u32_e32 v1, vcc_lo, s11, v1, vcc_lo
	s_delay_alu instid0(VALU_DEP_1) | instskip(SKIP_1) | instid1(SALU_CYCLE_1)
	v_cmp_le_u64_e32 vcc_lo, s[16:17], v[0:1]
	s_or_b32 s15, vcc_lo, s15
	s_and_not1_b32 exec_lo, exec_lo, s15
	s_cbranch_execz .LBB0_16
.LBB0_3:                                ; =>This Inner Loop Header: Depth=1
	v_or_b32_e32 v5, s13, v1
	s_delay_alu instid0(VALU_DEP_1) | instskip(SKIP_1) | instid1(SALU_CYCLE_1)
	v_cmp_ne_u64_e32 vcc_lo, 0, v[4:5]
                                        ; implicit-def: $vgpr5_vgpr6
	s_and_saveexec_b32 s0, vcc_lo
	s_xor_b32 s21, exec_lo, s0
	s_cbranch_execz .LBB0_5
; %bb.4:                                ;   in Loop: Header=BB0_3 Depth=1
	s_sub_u32 s0, 0, s12
	s_subb_u32 s22, 0, s13
	v_mul_hi_u32 v5, s0, v11
	v_mul_lo_u32 v6, s0, v12
	v_mul_lo_u32 v7, s22, v11
	s_delay_alu instid0(VALU_DEP_2) | instskip(SKIP_1) | instid1(VALU_DEP_2)
	v_add_nc_u32_e32 v5, v5, v6
	v_mul_lo_u32 v6, s0, v11
	v_add_nc_u32_e32 v5, v5, v7
	s_delay_alu instid0(VALU_DEP_2) | instskip(NEXT) | instid1(VALU_DEP_2)
	v_mul_hi_u32 v7, v11, v6
	v_mul_lo_u32 v8, v11, v5
	v_mul_hi_u32 v9, v11, v5
	v_mul_hi_u32 v10, v12, v6
	v_mul_lo_u32 v6, v12, v6
	v_mul_hi_u32 v14, v12, v5
	v_mul_lo_u32 v5, v12, v5
	v_add_co_u32 v7, vcc_lo, v7, v8
	v_add_co_ci_u32_e32 v8, vcc_lo, 0, v9, vcc_lo
	s_delay_alu instid0(VALU_DEP_2) | instskip(NEXT) | instid1(VALU_DEP_2)
	v_add_co_u32 v6, vcc_lo, v7, v6
	v_add_co_ci_u32_e32 v6, vcc_lo, v8, v10, vcc_lo
	v_add_co_ci_u32_e32 v7, vcc_lo, 0, v14, vcc_lo
	s_delay_alu instid0(VALU_DEP_2) | instskip(NEXT) | instid1(VALU_DEP_2)
	v_add_co_u32 v5, vcc_lo, v6, v5
	v_add_co_ci_u32_e32 v6, vcc_lo, 0, v7, vcc_lo
	s_delay_alu instid0(VALU_DEP_2) | instskip(NEXT) | instid1(VALU_DEP_2)
	v_add_co_u32 v5, vcc_lo, v11, v5
	v_add_co_ci_u32_e32 v6, vcc_lo, v12, v6, vcc_lo
	s_delay_alu instid0(VALU_DEP_2) | instskip(SKIP_1) | instid1(VALU_DEP_3)
	v_mul_hi_u32 v7, s0, v5
	v_mul_lo_u32 v9, s22, v5
	v_mul_lo_u32 v8, s0, v6
	s_delay_alu instid0(VALU_DEP_1) | instskip(SKIP_1) | instid1(VALU_DEP_2)
	v_add_nc_u32_e32 v7, v7, v8
	v_mul_lo_u32 v8, s0, v5
	v_add_nc_u32_e32 v7, v7, v9
	s_delay_alu instid0(VALU_DEP_2) | instskip(NEXT) | instid1(VALU_DEP_2)
	v_mul_hi_u32 v9, v5, v8
	v_mul_lo_u32 v10, v5, v7
	v_mul_hi_u32 v14, v5, v7
	v_mul_hi_u32 v15, v6, v8
	v_mul_lo_u32 v8, v6, v8
	v_mul_hi_u32 v16, v6, v7
	v_mul_lo_u32 v7, v6, v7
	v_add_co_u32 v9, vcc_lo, v9, v10
	v_add_co_ci_u32_e32 v10, vcc_lo, 0, v14, vcc_lo
	s_delay_alu instid0(VALU_DEP_2) | instskip(NEXT) | instid1(VALU_DEP_2)
	v_add_co_u32 v8, vcc_lo, v9, v8
	v_add_co_ci_u32_e32 v8, vcc_lo, v10, v15, vcc_lo
	v_add_co_ci_u32_e32 v9, vcc_lo, 0, v16, vcc_lo
	s_delay_alu instid0(VALU_DEP_2) | instskip(NEXT) | instid1(VALU_DEP_2)
	v_add_co_u32 v7, vcc_lo, v8, v7
	v_add_co_ci_u32_e32 v8, vcc_lo, 0, v9, vcc_lo
	s_delay_alu instid0(VALU_DEP_2) | instskip(NEXT) | instid1(VALU_DEP_2)
	v_add_co_u32 v9, vcc_lo, v5, v7
	v_add_co_ci_u32_e32 v14, vcc_lo, v6, v8, vcc_lo
	s_delay_alu instid0(VALU_DEP_2) | instskip(SKIP_1) | instid1(VALU_DEP_3)
	v_mul_hi_u32 v15, v0, v9
	v_mad_u64_u32 v[7:8], null, v1, v9, 0
	v_mad_u64_u32 v[5:6], null, v0, v14, 0
	;; [unrolled: 1-line block ×3, first 2 shown]
	s_delay_alu instid0(VALU_DEP_2) | instskip(NEXT) | instid1(VALU_DEP_3)
	v_add_co_u32 v5, vcc_lo, v15, v5
	v_add_co_ci_u32_e32 v6, vcc_lo, 0, v6, vcc_lo
	s_delay_alu instid0(VALU_DEP_2) | instskip(NEXT) | instid1(VALU_DEP_2)
	v_add_co_u32 v5, vcc_lo, v5, v7
	v_add_co_ci_u32_e32 v5, vcc_lo, v6, v8, vcc_lo
	v_add_co_ci_u32_e32 v6, vcc_lo, 0, v10, vcc_lo
	s_delay_alu instid0(VALU_DEP_2) | instskip(NEXT) | instid1(VALU_DEP_2)
	v_add_co_u32 v7, vcc_lo, v5, v9
	v_add_co_ci_u32_e32 v8, vcc_lo, 0, v6, vcc_lo
	s_delay_alu instid0(VALU_DEP_2) | instskip(SKIP_1) | instid1(VALU_DEP_3)
	v_mul_lo_u32 v9, s13, v7
	v_mad_u64_u32 v[5:6], null, s12, v7, 0
	v_mul_lo_u32 v10, s12, v8
	s_delay_alu instid0(VALU_DEP_2) | instskip(NEXT) | instid1(VALU_DEP_2)
	v_sub_co_u32 v5, vcc_lo, v0, v5
	v_add3_u32 v6, v6, v10, v9
	s_delay_alu instid0(VALU_DEP_1) | instskip(NEXT) | instid1(VALU_DEP_1)
	v_sub_nc_u32_e32 v9, v1, v6
	v_subrev_co_ci_u32_e64 v9, s0, s13, v9, vcc_lo
	v_add_co_u32 v10, s0, v7, 2
	s_delay_alu instid0(VALU_DEP_1) | instskip(SKIP_3) | instid1(VALU_DEP_3)
	v_add_co_ci_u32_e64 v14, s0, 0, v8, s0
	v_sub_co_u32 v15, s0, v5, s12
	v_sub_co_ci_u32_e32 v6, vcc_lo, v1, v6, vcc_lo
	v_subrev_co_ci_u32_e64 v9, s0, 0, v9, s0
	v_cmp_le_u32_e32 vcc_lo, s12, v15
	s_delay_alu instid0(VALU_DEP_3) | instskip(SKIP_1) | instid1(VALU_DEP_4)
	v_cmp_eq_u32_e64 s0, s13, v6
	v_cndmask_b32_e64 v15, 0, -1, vcc_lo
	v_cmp_le_u32_e32 vcc_lo, s13, v9
	v_cndmask_b32_e64 v16, 0, -1, vcc_lo
	v_cmp_le_u32_e32 vcc_lo, s12, v5
	;; [unrolled: 2-line block ×3, first 2 shown]
	v_cndmask_b32_e64 v17, 0, -1, vcc_lo
	v_cmp_eq_u32_e32 vcc_lo, s13, v9
	s_delay_alu instid0(VALU_DEP_2) | instskip(SKIP_3) | instid1(VALU_DEP_3)
	v_cndmask_b32_e64 v5, v17, v5, s0
	v_cndmask_b32_e32 v9, v16, v15, vcc_lo
	v_add_co_u32 v15, vcc_lo, v7, 1
	v_add_co_ci_u32_e32 v16, vcc_lo, 0, v8, vcc_lo
	v_cmp_ne_u32_e32 vcc_lo, 0, v9
	s_delay_alu instid0(VALU_DEP_2) | instskip(NEXT) | instid1(VALU_DEP_4)
	v_cndmask_b32_e32 v6, v16, v14, vcc_lo
	v_cndmask_b32_e32 v9, v15, v10, vcc_lo
	v_cmp_ne_u32_e32 vcc_lo, 0, v5
	s_delay_alu instid0(VALU_DEP_2)
	v_dual_cndmask_b32 v6, v8, v6 :: v_dual_cndmask_b32 v5, v7, v9
.LBB0_5:                                ;   in Loop: Header=BB0_3 Depth=1
	s_and_not1_saveexec_b32 s0, s21
; %bb.6:                                ;   in Loop: Header=BB0_3 Depth=1
	v_mul_hi_u32 v5, v0, v13
	s_delay_alu instid0(VALU_DEP_1) | instskip(NEXT) | instid1(VALU_DEP_1)
	v_mul_lo_u32 v6, v5, s12
	v_sub_nc_u32_e32 v6, v0, v6
	s_delay_alu instid0(VALU_DEP_1) | instskip(SKIP_1) | instid1(VALU_DEP_2)
	v_subrev_nc_u32_e32 v8, s12, v6
	v_cmp_le_u32_e32 vcc_lo, s12, v6
	v_dual_cndmask_b32 v6, v6, v8 :: v_dual_add_nc_u32 v7, 1, v5
	s_delay_alu instid0(VALU_DEP_1) | instskip(NEXT) | instid1(VALU_DEP_2)
	v_cndmask_b32_e32 v5, v5, v7, vcc_lo
	v_cmp_le_u32_e32 vcc_lo, s12, v6
	s_delay_alu instid0(VALU_DEP_2) | instskip(NEXT) | instid1(VALU_DEP_1)
	v_dual_mov_b32 v6, v4 :: v_dual_add_nc_u32 v7, 1, v5
	v_cndmask_b32_e32 v5, v5, v7, vcc_lo
; %bb.7:                                ;   in Loop: Header=BB0_3 Depth=1
	s_or_b32 exec_lo, exec_lo, s0
	s_delay_alu instid0(VALU_DEP_2) | instskip(NEXT) | instid1(VALU_DEP_2)
	v_mul_lo_u32 v9, v6, s12
	v_mul_lo_u32 v10, v5, s13
	v_mad_u64_u32 v[7:8], null, v5, s12, 0
	s_cmpk_lt_i32 s20, 0x7a
	s_delay_alu instid0(VALU_DEP_1) | instskip(NEXT) | instid1(VALU_DEP_2)
	v_add3_u32 v8, v8, v10, v9
	v_sub_co_u32 v7, vcc_lo, v0, v7
	s_delay_alu instid0(VALU_DEP_2)
	v_sub_co_ci_u32_e32 v8, vcc_lo, v1, v8, vcc_lo
	s_cbranch_scc1 .LBB0_10
; %bb.8:                                ;   in Loop: Header=BB0_3 Depth=1
	s_mov_b32 s0, 0
	s_cmpk_eq_i32 s20, 0x7a
	s_mov_b32 s21, 0
                                        ; implicit-def: $vgpr9_vgpr10
	s_cbranch_scc0 .LBB0_11
; %bb.9:                                ;   in Loop: Header=BB0_3 Depth=1
	v_lshlrev_b64 v[9:10], 3, v[7:8]
	s_mov_b32 s21, -1
	s_delay_alu instid0(VALU_DEP_1) | instskip(NEXT) | instid1(VALU_DEP_2)
	v_sub_co_u32 v14, vcc_lo, s1, v9
	v_sub_co_ci_u32_e32 v9, vcc_lo, s9, v10, vcc_lo
	s_delay_alu instid0(VALU_DEP_2) | instskip(NEXT) | instid1(VALU_DEP_2)
	v_cvt_f64_u32_e32 v[14:15], v14
	v_cvt_f64_u32_e32 v[9:10], v9
	s_delay_alu instid0(VALU_DEP_1) | instskip(NEXT) | instid1(VALU_DEP_1)
	v_ldexp_f64 v[9:10], v[9:10], 32
	v_add_f64 v[9:10], v[9:10], v[14:15]
	s_delay_alu instid0(VALU_DEP_1) | instskip(SKIP_1) | instid1(VALU_DEP_1)
	v_cmp_gt_f64_e32 vcc_lo, 0x10000000, v[9:10]
	v_cndmask_b32_e64 v14, 0, 1, vcc_lo
	v_lshlrev_b32_e32 v14, 8, v14
	s_delay_alu instid0(VALU_DEP_1) | instskip(NEXT) | instid1(VALU_DEP_1)
	v_ldexp_f64 v[9:10], v[9:10], v14
	v_rsq_f64_e32 v[14:15], v[9:10]
	s_waitcnt_depctr 0xfff
	v_mul_f64 v[16:17], v[9:10], v[14:15]
	v_mul_f64 v[14:15], v[14:15], 0.5
	s_delay_alu instid0(VALU_DEP_1) | instskip(NEXT) | instid1(VALU_DEP_1)
	v_fma_f64 v[18:19], -v[14:15], v[16:17], 0.5
	v_fma_f64 v[16:17], v[16:17], v[18:19], v[16:17]
	v_fma_f64 v[14:15], v[14:15], v[18:19], v[14:15]
	s_delay_alu instid0(VALU_DEP_2) | instskip(NEXT) | instid1(VALU_DEP_1)
	v_fma_f64 v[18:19], -v[16:17], v[16:17], v[9:10]
	v_fma_f64 v[16:17], v[18:19], v[14:15], v[16:17]
	s_delay_alu instid0(VALU_DEP_1) | instskip(NEXT) | instid1(VALU_DEP_1)
	v_fma_f64 v[18:19], -v[16:17], v[16:17], v[9:10]
	v_fma_f64 v[14:15], v[18:19], v[14:15], v[16:17]
	v_cndmask_b32_e64 v16, 0, 0xffffff80, vcc_lo
	v_cmp_class_f64_e64 vcc_lo, v[9:10], 0x260
	v_mul_lo_u32 v17, v5, s5
	s_delay_alu instid0(VALU_DEP_3) | instskip(SKIP_1) | instid1(VALU_DEP_2)
	v_ldexp_f64 v[14:15], v[14:15], v16
	v_mul_lo_u32 v16, v6, s4
	v_dual_cndmask_b32 v10, v15, v10 :: v_dual_cndmask_b32 v9, v14, v9
	s_delay_alu instid0(VALU_DEP_1) | instskip(NEXT) | instid1(VALU_DEP_1)
	v_fma_f64 v[9:10], v[9:10], 0.5, -0.5
	v_floor_f64_e32 v[9:10], v[9:10]
	s_delay_alu instid0(VALU_DEP_1) | instskip(NEXT) | instid1(VALU_DEP_1)
	v_add_f64 v[9:10], v[2:3], -v[9:10]
	v_trunc_f64_e32 v[9:10], v[9:10]
	s_delay_alu instid0(VALU_DEP_1) | instskip(NEXT) | instid1(VALU_DEP_1)
	v_ldexp_f64 v[14:15], v[9:10], 0xffffffe0
	v_floor_f64_e32 v[14:15], v[14:15]
	s_delay_alu instid0(VALU_DEP_1) | instskip(SKIP_1) | instid1(VALU_DEP_2)
	v_fma_f64 v[9:10], 0xc1f00000, v[14:15], v[9:10]
	v_cvt_u32_f64_e32 v15, v[14:15]
	v_cvt_u32_f64_e32 v14, v[9:10]
	v_mad_u64_u32 v[9:10], null, v5, s4, 0
	s_delay_alu instid0(VALU_DEP_3) | instskip(NEXT) | instid1(VALU_DEP_2)
	v_mul_lo_u32 v20, v15, s18
	v_add3_u32 v10, v10, v17, v16
	s_delay_alu instid0(VALU_DEP_1) | instskip(SKIP_4) | instid1(VALU_DEP_4)
	v_lshlrev_b64 v[9:10], 2, v[9:10]
	v_sub_co_u32 v22, vcc_lo, s10, v14
	v_sub_co_ci_u32_e32 v21, vcc_lo, s8, v15, vcc_lo
	v_mul_lo_u32 v23, v14, s19
	v_mad_u64_u32 v[16:17], null, v14, s18, 0
	v_add_co_u32 v24, vcc_lo, v22, -1
	s_delay_alu instid0(VALU_DEP_4) | instskip(SKIP_1) | instid1(VALU_DEP_4)
	v_add_co_ci_u32_e32 v25, vcc_lo, -1, v21, vcc_lo
	v_sub_co_u32 v18, vcc_lo, v7, s2
	v_add3_u32 v17, v17, v23, v20
	s_delay_alu instid0(VALU_DEP_3)
	v_mul_lo_u32 v23, v25, v22
	v_mul_lo_u32 v25, v24, v21
	v_mad_u64_u32 v[20:21], null, v24, v22, 0
	v_subrev_co_ci_u32_e32 v19, vcc_lo, s3, v8, vcc_lo
	v_lshlrev_b64 v[16:17], 2, v[16:17]
	v_add_co_u32 v9, vcc_lo, s6, v9
	v_add_co_ci_u32_e32 v10, vcc_lo, s7, v10, vcc_lo
	s_delay_alu instid0(VALU_DEP_4) | instskip(SKIP_1) | instid1(VALU_DEP_4)
	v_lshlrev_b64 v[18:19], 2, v[18:19]
	v_add3_u32 v21, v21, v25, v23
	v_add_co_u32 v16, vcc_lo, v9, v16
	s_delay_alu instid0(VALU_DEP_4) | instskip(NEXT) | instid1(VALU_DEP_3)
	v_add_co_ci_u32_e32 v17, vcc_lo, v10, v17, vcc_lo
	v_lshlrev_b64 v[9:10], 1, v[20:21]
	v_lshlrev_b64 v[14:15], 2, v[14:15]
	s_delay_alu instid0(VALU_DEP_4) | instskip(NEXT) | instid1(VALU_DEP_4)
	v_add_co_u32 v16, vcc_lo, v16, v18
	v_add_co_ci_u32_e32 v17, vcc_lo, v17, v19, vcc_lo
	s_delay_alu instid0(VALU_DEP_4) | instskip(NEXT) | instid1(VALU_DEP_3)
	v_and_b32_e32 v9, -4, v9
	v_add_co_u32 v14, vcc_lo, v16, v14
	s_delay_alu instid0(VALU_DEP_3) | instskip(NEXT) | instid1(VALU_DEP_2)
	v_add_co_ci_u32_e32 v15, vcc_lo, v17, v15, vcc_lo
	v_add_co_u32 v9, vcc_lo, v14, v9
	s_delay_alu instid0(VALU_DEP_2) | instskip(NEXT) | instid1(VALU_DEP_2)
	v_add_co_ci_u32_e32 v10, vcc_lo, v15, v10, vcc_lo
	v_add_co_u32 v9, vcc_lo, v9, 4
	s_delay_alu instid0(VALU_DEP_2)
	v_add_co_ci_u32_e32 v10, vcc_lo, 0, v10, vcc_lo
	s_branch .LBB0_11
.LBB0_10:                               ;   in Loop: Header=BB0_3 Depth=1
	s_mov_b32 s0, -1
	s_mov_b32 s21, 0
                                        ; implicit-def: $vgpr9_vgpr10
.LBB0_11:                               ;   in Loop: Header=BB0_3 Depth=1
	s_and_b32 vcc_lo, exec_lo, s0
	s_cbranch_vccz .LBB0_14
; %bb.12:                               ;   in Loop: Header=BB0_3 Depth=1
	s_cmpk_eq_i32 s20, 0x79
                                        ; implicit-def: $vgpr9_vgpr10
	s_cbranch_scc0 .LBB0_14
; %bb.13:                               ;   in Loop: Header=BB0_3 Depth=1
	v_lshlrev_b64 v[9:10], 3, v[7:8]
	s_mov_b32 s21, -1
	s_delay_alu instid0(VALU_DEP_1) | instskip(NEXT) | instid1(VALU_DEP_2)
	v_cvt_f64_u32_e32 v[14:15], v10
	v_or_b32_e32 v9, 1, v9
	s_delay_alu instid0(VALU_DEP_1) | instskip(NEXT) | instid1(VALU_DEP_3)
	v_cvt_f64_u32_e32 v[9:10], v9
	v_ldexp_f64 v[14:15], v[14:15], 32
	s_delay_alu instid0(VALU_DEP_1) | instskip(NEXT) | instid1(VALU_DEP_1)
	v_add_f64 v[9:10], v[14:15], v[9:10]
	v_cmp_gt_f64_e32 vcc_lo, 0x10000000, v[9:10]
	v_cndmask_b32_e64 v14, 0, 1, vcc_lo
	s_delay_alu instid0(VALU_DEP_1) | instskip(NEXT) | instid1(VALU_DEP_1)
	v_lshlrev_b32_e32 v14, 8, v14
	v_ldexp_f64 v[9:10], v[9:10], v14
	s_delay_alu instid0(VALU_DEP_1) | instskip(SKIP_3) | instid1(VALU_DEP_1)
	v_rsq_f64_e32 v[14:15], v[9:10]
	s_waitcnt_depctr 0xfff
	v_mul_f64 v[16:17], v[9:10], v[14:15]
	v_mul_f64 v[14:15], v[14:15], 0.5
	v_fma_f64 v[18:19], -v[14:15], v[16:17], 0.5
	s_delay_alu instid0(VALU_DEP_1) | instskip(SKIP_1) | instid1(VALU_DEP_2)
	v_fma_f64 v[16:17], v[16:17], v[18:19], v[16:17]
	v_fma_f64 v[14:15], v[14:15], v[18:19], v[14:15]
	v_fma_f64 v[18:19], -v[16:17], v[16:17], v[9:10]
	s_delay_alu instid0(VALU_DEP_1) | instskip(NEXT) | instid1(VALU_DEP_1)
	v_fma_f64 v[16:17], v[18:19], v[14:15], v[16:17]
	v_fma_f64 v[18:19], -v[16:17], v[16:17], v[9:10]
	s_delay_alu instid0(VALU_DEP_1) | instskip(SKIP_4) | instid1(VALU_DEP_4)
	v_fma_f64 v[14:15], v[18:19], v[14:15], v[16:17]
	v_cndmask_b32_e64 v16, 0, 0xffffff80, vcc_lo
	v_cmp_class_f64_e64 vcc_lo, v[9:10], 0x260
	v_mul_lo_u32 v17, v6, s4
	v_mul_lo_u32 v18, v5, s5
	v_ldexp_f64 v[14:15], v[14:15], v16
	s_delay_alu instid0(VALU_DEP_1) | instskip(NEXT) | instid1(VALU_DEP_1)
	v_dual_cndmask_b32 v10, v15, v10 :: v_dual_cndmask_b32 v9, v14, v9
	v_add_f64 v[9:10], v[9:10], -1.0
	s_delay_alu instid0(VALU_DEP_1) | instskip(NEXT) | instid1(VALU_DEP_1)
	v_mul_f64 v[9:10], v[9:10], 0.5
	v_trunc_f64_e32 v[9:10], v[9:10]
	s_delay_alu instid0(VALU_DEP_1) | instskip(NEXT) | instid1(VALU_DEP_1)
	v_ldexp_f64 v[14:15], v[9:10], 0xffffffe0
	v_floor_f64_e32 v[14:15], v[14:15]
	s_delay_alu instid0(VALU_DEP_1) | instskip(SKIP_1) | instid1(VALU_DEP_2)
	v_fma_f64 v[9:10], 0xc1f00000, v[14:15], v[9:10]
	v_cvt_u32_f64_e32 v15, v[14:15]
	v_cvt_u32_f64_e32 v14, v[9:10]
	v_mad_u64_u32 v[9:10], null, v5, s4, 0
	s_delay_alu instid0(VALU_DEP_3) | instskip(NEXT) | instid1(VALU_DEP_2)
	v_mul_lo_u32 v20, s18, v15
	v_add3_u32 v10, v10, v18, v17
	s_delay_alu instid0(VALU_DEP_1) | instskip(SKIP_4) | instid1(VALU_DEP_3)
	v_lshlrev_b64 v[9:10], 2, v[9:10]
	v_mad_u64_u32 v[5:6], null, v14, v14, v[14:15]
	v_mul_lo_u32 v19, v14, v15
	v_mul_lo_u32 v21, s19, v14
	v_mad_u64_u32 v[15:16], null, s18, v14, s[18:19]
	v_add3_u32 v6, v19, v6, v19
	s_delay_alu instid0(VALU_DEP_2) | instskip(NEXT) | instid1(VALU_DEP_2)
	v_add3_u32 v16, v21, v16, v20
	v_lshrrev_b64 v[5:6], 1, v[5:6]
	s_delay_alu instid0(VALU_DEP_2) | instskip(NEXT) | instid1(VALU_DEP_2)
	v_lshlrev_b64 v[14:15], 2, v[15:16]
	v_sub_co_u32 v5, vcc_lo, v7, v5
	s_delay_alu instid0(VALU_DEP_3) | instskip(SKIP_2) | instid1(VALU_DEP_3)
	v_sub_co_ci_u32_e32 v6, vcc_lo, v8, v6, vcc_lo
	v_add_co_u32 v7, vcc_lo, s6, v9
	v_add_co_ci_u32_e32 v8, vcc_lo, s7, v10, vcc_lo
	v_lshlrev_b64 v[5:6], 2, v[5:6]
	s_delay_alu instid0(VALU_DEP_3) | instskip(NEXT) | instid1(VALU_DEP_3)
	v_add_co_u32 v7, vcc_lo, v7, v14
	v_add_co_ci_u32_e32 v8, vcc_lo, v8, v15, vcc_lo
	s_delay_alu instid0(VALU_DEP_2) | instskip(NEXT) | instid1(VALU_DEP_2)
	v_add_co_u32 v9, vcc_lo, v7, v5
	v_add_co_ci_u32_e32 v10, vcc_lo, v8, v6, vcc_lo
.LBB0_14:                               ;   in Loop: Header=BB0_3 Depth=1
	s_and_b32 vcc_lo, exec_lo, s21
	s_cbranch_vccz .LBB0_2
; %bb.15:                               ;   in Loop: Header=BB0_3 Depth=1
	global_store_b32 v[9:10], v4, off
	s_branch .LBB0_2
.LBB0_16:
	s_nop 0
	s_sendmsg sendmsg(MSG_DEALLOC_VGPRS)
	s_endpgm
	.section	.rodata,"a",@progbits
	.p2align	6, 0x0
	.amdhsa_kernel _ZL18rocblas_trtri_fillILi128EfPfEvP15_rocblas_handle13rocblas_fill_ililT1_llii
		.amdhsa_group_segment_fixed_size 0
		.amdhsa_private_segment_fixed_size 0
		.amdhsa_kernarg_size 328
		.amdhsa_user_sgpr_count 14
		.amdhsa_user_sgpr_dispatch_ptr 0
		.amdhsa_user_sgpr_queue_ptr 0
		.amdhsa_user_sgpr_kernarg_segment_ptr 1
		.amdhsa_user_sgpr_dispatch_id 0
		.amdhsa_user_sgpr_private_segment_size 0
		.amdhsa_wavefront_size32 1
		.amdhsa_uses_dynamic_stack 0
		.amdhsa_enable_private_segment 0
		.amdhsa_system_sgpr_workgroup_id_x 1
		.amdhsa_system_sgpr_workgroup_id_y 0
		.amdhsa_system_sgpr_workgroup_id_z 1
		.amdhsa_system_sgpr_workgroup_info 0
		.amdhsa_system_vgpr_workitem_id 0
		.amdhsa_next_free_vgpr 26
		.amdhsa_next_free_sgpr 23
		.amdhsa_reserve_vcc 1
		.amdhsa_float_round_mode_32 0
		.amdhsa_float_round_mode_16_64 0
		.amdhsa_float_denorm_mode_32 3
		.amdhsa_float_denorm_mode_16_64 3
		.amdhsa_dx10_clamp 1
		.amdhsa_ieee_mode 1
		.amdhsa_fp16_overflow 0
		.amdhsa_workgroup_processor_mode 1
		.amdhsa_memory_ordered 1
		.amdhsa_forward_progress 0
		.amdhsa_shared_vgpr_count 0
		.amdhsa_exception_fp_ieee_invalid_op 0
		.amdhsa_exception_fp_denorm_src 0
		.amdhsa_exception_fp_ieee_div_zero 0
		.amdhsa_exception_fp_ieee_overflow 0
		.amdhsa_exception_fp_ieee_underflow 0
		.amdhsa_exception_fp_ieee_inexact 0
		.amdhsa_exception_int_div_zero 0
	.end_amdhsa_kernel
	.section	.text._ZL18rocblas_trtri_fillILi128EfPfEvP15_rocblas_handle13rocblas_fill_ililT1_llii,"axG",@progbits,_ZL18rocblas_trtri_fillILi128EfPfEvP15_rocblas_handle13rocblas_fill_ililT1_llii,comdat
.Lfunc_end0:
	.size	_ZL18rocblas_trtri_fillILi128EfPfEvP15_rocblas_handle13rocblas_fill_ililT1_llii, .Lfunc_end0-_ZL18rocblas_trtri_fillILi128EfPfEvP15_rocblas_handle13rocblas_fill_ililT1_llii
                                        ; -- End function
	.section	.AMDGPU.csdata,"",@progbits
; Kernel info:
; codeLenInByte = 2400
; NumSgprs: 25
; NumVgprs: 26
; ScratchSize: 0
; MemoryBound: 0
; FloatMode: 240
; IeeeMode: 1
; LDSByteSize: 0 bytes/workgroup (compile time only)
; SGPRBlocks: 3
; VGPRBlocks: 3
; NumSGPRsForWavesPerEU: 25
; NumVGPRsForWavesPerEU: 26
; Occupancy: 16
; WaveLimiterHint : 0
; COMPUTE_PGM_RSRC2:SCRATCH_EN: 0
; COMPUTE_PGM_RSRC2:USER_SGPR: 14
; COMPUTE_PGM_RSRC2:TRAP_HANDLER: 0
; COMPUTE_PGM_RSRC2:TGID_X_EN: 1
; COMPUTE_PGM_RSRC2:TGID_Y_EN: 0
; COMPUTE_PGM_RSRC2:TGID_Z_EN: 1
; COMPUTE_PGM_RSRC2:TIDIG_COMP_CNT: 0
	.section	.text._ZL26rocblas_trtri_small_kernelILi16EfPKfPfEv13rocblas_fill_17rocblas_diagonal_iT1_lillT2_lilli,"axG",@progbits,_ZL26rocblas_trtri_small_kernelILi16EfPKfPfEv13rocblas_fill_17rocblas_diagonal_iT1_lillT2_lilli,comdat
	.globl	_ZL26rocblas_trtri_small_kernelILi16EfPKfPfEv13rocblas_fill_17rocblas_diagonal_iT1_lillT2_lilli ; -- Begin function _ZL26rocblas_trtri_small_kernelILi16EfPKfPfEv13rocblas_fill_17rocblas_diagonal_iT1_lillT2_lilli
	.p2align	8
	.type	_ZL26rocblas_trtri_small_kernelILi16EfPKfPfEv13rocblas_fill_17rocblas_diagonal_iT1_lillT2_lilli,@function
_ZL26rocblas_trtri_small_kernelILi16EfPKfPfEv13rocblas_fill_17rocblas_diagonal_iT1_lillT2_lilli: ; @_ZL26rocblas_trtri_small_kernelILi16EfPKfPfEv13rocblas_fill_17rocblas_diagonal_iT1_lillT2_lilli
; %bb.0:
	s_load_b128 s[16:19], s[0:1], 0x0
	s_waitcnt lgkmcnt(0)
	s_cmp_lt_i32 s18, 1
	s_cbranch_scc1 .LBB1_46
; %bb.1:
	s_load_b256 s[4:11], s[0:1], 0x28
	v_cmp_le_u32_e64 s3, s18, v0
	v_cmp_gt_u32_e64 s2, s18, v0
	s_delay_alu instid0(VALU_DEP_1)
	s_and_saveexec_b32 s19, s2
	s_cbranch_execz .LBB1_14
; %bb.2:
	s_clause 0x1
	s_load_b128 s[20:23], s[0:1], 0x10
	s_load_b32 s12, s[0:1], 0x20
	s_waitcnt lgkmcnt(0)
	s_mul_i32 s5, s15, s5
	s_mul_hi_u32 s13, s15, s4
	s_mul_i32 s24, s15, s4
	s_add_i32 s25, s13, s5
	s_mul_i32 s5, s14, s7
	s_mul_hi_u32 s7, s14, s6
	s_mul_i32 s6, s14, s6
	s_add_i32 s7, s7, s5
	s_cmpk_lg_i32 s16, 0x7a
	s_mov_b32 s4, -1
	s_cbranch_scc0 .LBB1_6
; %bb.3:
	s_ashr_i32 s13, s12, 31
	s_lshl_b32 s5, s18, 2
	s_ashr_i32 s4, s18, 31
	s_add_u32 s26, s18, -1
	s_addc_u32 s4, s4, -1
	s_mul_i32 s27, s26, s13
	s_mul_hi_u32 s28, s26, s12
	s_mul_i32 s4, s4, s12
	s_add_i32 s27, s28, s27
	s_mul_i32 s26, s26, s12
	s_add_i32 s27, s27, s4
	s_lshl_b64 s[28:29], s[6:7], 2
	s_lshl_b64 s[26:27], s[26:27], 2
	v_lshlrev_b32_e32 v1, 2, v0
	s_add_u32 s4, s26, s28
	s_addc_u32 s28, s27, s29
	s_lshl_b64 s[26:27], s[24:25], 2
	s_delay_alu instid0(SALU_CYCLE_1)
	s_add_u32 s4, s4, s26
	s_addc_u32 s28, s28, s27
	s_lshl_b64 s[26:27], s[22:23], 2
	v_sub_nc_u32_e32 v2, s5, v1
	s_add_u32 s4, s4, s26
	s_addc_u32 s26, s28, s27
	s_add_u32 s4, s20, s4
	s_addc_u32 s28, s21, s26
	v_add_co_u32 v1, s4, s4, v1
	v_add_nc_u32_e32 v3, -4, v2
	s_lshl_b64 s[26:27], s[12:13], 2
	v_add_co_ci_u32_e64 v2, null, s28, 0, s4
	s_sub_u32 s13, 0, s26
	s_subb_u32 s27, 0, s27
	s_mov_b32 s26, 0
	s_mov_b32 s28, s18
.LBB1_4:                                ; =>This Inner Loop Header: Depth=1
	global_load_b32 v4, v[1:2], off
	s_add_i32 s28, s28, -1
	v_add_co_u32 v1, vcc_lo, v1, s13
	v_cmp_le_i32_e64 s4, s28, v0
	v_add_co_ci_u32_e32 v2, vcc_lo, s27, v2, vcc_lo
	s_delay_alu instid0(VALU_DEP_2)
	s_or_b32 s26, s4, s26
	s_waitcnt vmcnt(0)
	ds_store_b32 v3, v4
	v_add_nc_u32_e32 v3, s5, v3
	s_and_not1_b32 exec_lo, exec_lo, s26
	s_cbranch_execnz .LBB1_4
; %bb.5:
	s_or_b32 exec_lo, exec_lo, s26
	s_mov_b32 s4, 0
.LBB1_6:
	s_delay_alu instid0(SALU_CYCLE_1)
	s_and_b32 vcc_lo, exec_lo, s4
	s_cbranch_vccz .LBB1_14
; %bb.7:
	v_dual_mov_b32 v3, 0 :: v_dual_add_nc_u32 v4, 1, v0
	s_ashr_i32 s13, s12, 31
	s_mov_b32 s5, exec_lo
	v_cmpx_lt_u32_e32 2, v0
	s_cbranch_execz .LBB1_11
; %bb.8:
	s_lshl_b64 s[26:27], s[24:25], 2
	v_lshlrev_b32_e32 v5, 2, v0
	s_add_u32 s4, s20, s26
	s_addc_u32 s28, s21, s27
	s_lshl_b64 s[26:27], s[22:23], 2
	v_and_b32_e32 v3, 28, v4
	s_add_u32 s4, s4, s26
	s_addc_u32 s28, s28, s27
	s_lshl_b64 s[26:27], s[6:7], 2
	s_mul_hi_i32 s33, s12, 12
	s_add_u32 s4, s4, s26
	s_addc_u32 s26, s28, s27
	v_add_co_u32 v1, s4, s4, v5
	s_delay_alu instid0(VALU_DEP_1)
	v_add_co_ci_u32_e64 v2, null, s26, 0, s4
	s_mul_i32 s34, s12, 12
	s_lshl_b64 s[26:27], s[12:13], 4
	s_lshl_b64 s[28:29], s[12:13], 3
	;; [unrolled: 1-line block ×3, first 2 shown]
	s_lshl_b32 s35, s18, 2
	s_lshl_b32 s36, s18, 4
	;; [unrolled: 1-line block ×3, first 2 shown]
	s_mul_i32 s39, s18, 12
	s_mov_b32 s38, 0
	s_mov_b32 s40, 0
	s_set_inst_prefetch_distance 0x1
	.p2align	6
.LBB1_9:                                ; =>This Inner Loop Header: Depth=1
	v_add_co_u32 v6, vcc_lo, v1, s30
	v_add_co_ci_u32_e32 v7, vcc_lo, s31, v2, vcc_lo
	v_add_co_u32 v8, vcc_lo, v1, s28
	v_add_co_ci_u32_e32 v9, vcc_lo, s29, v2, vcc_lo
	v_add_co_u32 v10, vcc_lo, v1, s34
	v_add_co_ci_u32_e32 v11, vcc_lo, s33, v2, vcc_lo
	s_clause 0x3
	global_load_b32 v12, v[1:2], off
	global_load_b32 v6, v[6:7], off
	;; [unrolled: 1-line block ×4, first 2 shown]
	s_add_i32 s40, s40, 4
	v_add_co_u32 v1, s4, v1, s26
	v_cmp_eq_u32_e32 vcc_lo, s40, v3
	v_add_nc_u32_e32 v9, s35, v5
	v_add_nc_u32_e32 v10, s37, v5
	v_add_nc_u32_e32 v11, s39, v5
	v_add_co_ci_u32_e64 v2, s4, s27, v2, s4
	s_or_b32 s38, vcc_lo, s38
	s_waitcnt vmcnt(3)
	ds_store_b32 v5, v12
	v_add_nc_u32_e32 v5, s36, v5
	s_waitcnt vmcnt(2)
	ds_store_b32 v9, v6
	s_waitcnt vmcnt(1)
	ds_store_b32 v10, v7
	;; [unrolled: 2-line block ×3, first 2 shown]
	s_and_not1_b32 exec_lo, exec_lo, s38
	s_cbranch_execnz .LBB1_9
; %bb.10:
	s_set_inst_prefetch_distance 0x2
	s_or_b32 exec_lo, exec_lo, s38
.LBB1_11:
	s_delay_alu instid0(SALU_CYCLE_1) | instskip(SKIP_2) | instid1(VALU_DEP_1)
	s_or_b32 exec_lo, exec_lo, s5
	v_and_b32_e32 v4, 3, v4
	s_mov_b32 s5, 0
	v_cmp_ne_u32_e32 vcc_lo, 0, v4
	s_and_b32 exec_lo, exec_lo, vcc_lo
	s_cbranch_execz .LBB1_14
; %bb.12:
	v_mad_i64_i32 v[1:2], null, s12, v3, 0
	s_lshl_b64 s[6:7], s[6:7], 2
	s_lshl_b64 s[26:27], s[24:25], 2
	s_lshl_b32 s24, s18, 2
	s_add_u32 s4, s6, s26
	s_addc_u32 s25, s7, s27
	s_lshl_b64 s[6:7], s[22:23], 2
	s_delay_alu instid0(VALU_DEP_1) | instskip(SKIP_4) | instid1(VALU_DEP_3)
	v_lshlrev_b64 v[1:2], 2, v[1:2]
	s_add_u32 s4, s6, s4
	v_lshlrev_b32_e32 v5, 2, v0
	s_addc_u32 s6, s7, s25
	v_mul_lo_u32 v3, v3, s18
	v_add_co_u32 v1, vcc_lo, s4, v1
	v_add_co_ci_u32_e32 v2, vcc_lo, s6, v2, vcc_lo
	s_lshl_b64 s[6:7], s[12:13], 2
	s_delay_alu instid0(VALU_DEP_2) | instskip(NEXT) | instid1(VALU_DEP_2)
	v_add_co_u32 v1, vcc_lo, v1, v5
	v_add_co_ci_u32_e32 v2, vcc_lo, 0, v2, vcc_lo
	v_add_lshl_u32 v3, v0, v3, 2
	s_delay_alu instid0(VALU_DEP_3) | instskip(NEXT) | instid1(VALU_DEP_3)
	v_add_co_u32 v1, vcc_lo, s20, v1
	v_add_co_ci_u32_e32 v2, vcc_lo, s21, v2, vcc_lo
.LBB1_13:                               ; =>This Inner Loop Header: Depth=1
	global_load_b32 v5, v[1:2], off
	v_add_nc_u32_e32 v4, -1, v4
	v_add_co_u32 v1, vcc_lo, v1, s6
	v_add_co_ci_u32_e32 v2, vcc_lo, s7, v2, vcc_lo
	s_delay_alu instid0(VALU_DEP_3) | instskip(NEXT) | instid1(VALU_DEP_1)
	v_cmp_eq_u32_e64 s4, 0, v4
	s_or_b32 s5, s4, s5
	s_waitcnt vmcnt(0)
	ds_store_b32 v3, v5
	v_add_nc_u32_e32 v3, s24, v3
	s_and_not1_b32 exec_lo, exec_lo, s5
	s_cbranch_execnz .LBB1_13
.LBB1_14:
	s_or_b32 exec_lo, exec_lo, s19
	s_waitcnt vmcnt(0) lgkmcnt(0)
	s_waitcnt_vscnt null, 0x0
	; wave barrier
	s_waitcnt lgkmcnt(0)
	buffer_gl0_inv
                                        ; implicit-def: $vgpr1
	s_and_saveexec_b32 s4, s3
	s_delay_alu instid0(SALU_CYCLE_1)
	s_xor_b32 s3, exec_lo, s4
; %bb.15:
	v_mad_u64_u32 v[1:2], null, v0, s18, v[0:1]
; %bb.16:
	s_and_not1_saveexec_b32 s3, s3
	s_cbranch_execz .LBB1_22
; %bb.17:
	s_delay_alu instid0(VALU_DEP_1) | instskip(SKIP_2) | instid1(VALU_DEP_2)
	v_mad_u64_u32 v[1:2], null, v0, s18, v[0:1]
	v_mov_b32_e32 v4, 1.0
	s_cmpk_eq_i32 s17, 0x84
	v_lshlrev_b32_e32 v2, 2, v1
	s_cbranch_scc1 .LBB1_21
; %bb.18:
	ds_load_b32 v3, v2
	v_mov_b32_e32 v4, 1.0
	s_mov_b32 s4, exec_lo
	s_waitcnt lgkmcnt(0)
	v_cmpx_neq_f32_e32 0, v3
; %bb.19:
	v_div_scale_f32 v4, null, v3, v3, 1.0
	s_delay_alu instid0(VALU_DEP_1) | instskip(SKIP_2) | instid1(VALU_DEP_1)
	v_rcp_f32_e32 v5, v4
	s_waitcnt_depctr 0xfff
	v_fma_f32 v6, -v4, v5, 1.0
	v_fmac_f32_e32 v5, v6, v5
	v_div_scale_f32 v6, vcc_lo, 1.0, v3, 1.0
	s_delay_alu instid0(VALU_DEP_1) | instskip(NEXT) | instid1(VALU_DEP_1)
	v_mul_f32_e32 v7, v6, v5
	v_fma_f32 v8, -v4, v7, v6
	s_delay_alu instid0(VALU_DEP_1) | instskip(NEXT) | instid1(VALU_DEP_1)
	v_fmac_f32_e32 v7, v8, v5
	v_fma_f32 v4, -v4, v7, v6
	s_delay_alu instid0(VALU_DEP_1) | instskip(NEXT) | instid1(VALU_DEP_1)
	v_div_fmas_f32 v4, v4, v5, v7
	v_div_fixup_f32 v4, v4, v3, 1.0
; %bb.20:
	s_or_b32 exec_lo, exec_lo, s4
.LBB1_21:
	ds_store_b32 v2, v4
.LBB1_22:
	s_or_b32 exec_lo, exec_lo, s3
	s_delay_alu instid0(VALU_DEP_1)
	v_lshlrev_b32_e32 v1, 2, v1
	v_add_lshl_u32 v2, v0, s18, 2
	s_lshl_b32 s19, s18, 2
	s_mov_b32 s3, 4
	s_add_i32 s4, s19, 4
	s_mov_b32 s5, 0
	s_waitcnt vmcnt(0) lgkmcnt(0)
	s_waitcnt_vscnt null, 0x0
	; wave barrier
	s_waitcnt lgkmcnt(0)
	buffer_gl0_inv
	s_branch .LBB1_24
.LBB1_23:                               ;   in Loop: Header=BB1_24 Depth=1
	s_set_inst_prefetch_distance 0x2
	v_add_nc_u32_e32 v2, s19, v2
	s_add_i32 s3, s3, s4
	s_cmp_eq_u32 s5, s18
	s_waitcnt vmcnt(0) lgkmcnt(0)
	s_waitcnt_vscnt null, 0x0
	; wave barrier
	buffer_gl0_inv
	s_cbranch_scc1 .LBB1_33
.LBB1_24:                               ; =>This Loop Header: Depth=1
                                        ;     Child Loop BB1_29 Depth 2
	s_mul_i32 s7, s5, s18
	v_mov_b32_e32 v4, 0
	v_add_lshl_u32 v3, s7, v0, 2
	s_mov_b32 s6, exec_lo
	v_cmpx_lt_u32_e64 s5, v0
	s_cbranch_execz .LBB1_26
; %bb.25:                               ;   in Loop: Header=BB1_24 Depth=1
	s_add_i32 s7, s7, s5
	s_delay_alu instid0(SALU_CYCLE_1) | instskip(NEXT) | instid1(SALU_CYCLE_1)
	s_lshl_b32 s7, s7, 2
	v_mov_b32_e32 v4, s7
	ds_load_b32 v5, v3
	ds_load_b32 v4, v4
	s_waitcnt lgkmcnt(0)
	v_fma_f32 v4, v5, v4, 0
.LBB1_26:                               ;   in Loop: Header=BB1_24 Depth=1
	s_or_b32 exec_lo, exec_lo, s6
	s_add_i32 s5, s5, 1
	s_delay_alu instid0(SALU_CYCLE_1)
	s_cmp_ge_i32 s5, s18
	; wave barrier
	buffer_gl0_inv
	s_cbranch_scc1 .LBB1_23
; %bb.27:                               ;   in Loop: Header=BB1_24 Depth=1
	v_mov_b32_e32 v5, v2
	s_mov_b32 s6, s3
	s_mov_b32 s7, s5
	s_set_inst_prefetch_distance 0x1
	s_branch .LBB1_29
	.p2align	6
.LBB1_28:                               ;   in Loop: Header=BB1_29 Depth=2
	s_or_b32 exec_lo, exec_lo, s12
	v_add_nc_u32_e32 v5, s19, v5
	s_add_i32 s7, s7, 1
	s_add_i32 s6, s6, 4
	s_cmp_ge_i32 s7, s18
	s_waitcnt vmcnt(0) lgkmcnt(0)
	s_waitcnt_vscnt null, 0x0
	; wave barrier
	buffer_gl0_inv
	s_cbranch_scc1 .LBB1_23
.LBB1_29:                               ;   Parent Loop BB1_24 Depth=1
                                        ; =>  This Inner Loop Header: Depth=2
	s_mov_b32 s12, exec_lo
	v_cmpx_eq_u32_e64 s7, v0
	s_cbranch_execz .LBB1_31
; %bb.30:                               ;   in Loop: Header=BB1_29 Depth=2
	ds_load_b32 v6, v1
	s_waitcnt lgkmcnt(0)
	v_mul_f32_e64 v6, -v4, v6
	ds_store_b32 v3, v6
.LBB1_31:                               ;   in Loop: Header=BB1_29 Depth=2
	s_or_b32 exec_lo, exec_lo, s12
	s_delay_alu instid0(SALU_CYCLE_1)
	s_mov_b32 s12, exec_lo
	s_waitcnt vmcnt(0) lgkmcnt(0)
	s_waitcnt_vscnt null, 0x0
	; wave barrier
	s_waitcnt lgkmcnt(0)
	buffer_gl0_inv
	v_cmpx_lt_u32_e64 s7, v0
	s_cbranch_execz .LBB1_28
; %bb.32:                               ;   in Loop: Header=BB1_29 Depth=2
	v_mov_b32_e32 v6, s6
	ds_load_b32 v7, v5
	ds_load_b32 v6, v6
	s_waitcnt lgkmcnt(0)
	v_fmac_f32_e32 v4, v7, v6
	s_branch .LBB1_28
.LBB1_33:
	s_and_saveexec_b32 s3, s2
	s_cbranch_execz .LBB1_46
; %bb.34:
	s_clause 0x1
	s_load_b128 s[4:7], s[0:1], 0x50
	s_load_b32 s2, s[0:1], 0x48
	v_lshlrev_b32_e32 v3, 2, v0
	s_waitcnt lgkmcnt(0)
	s_mul_i32 s0, s15, s5
	s_mul_hi_u32 s1, s15, s4
	s_mul_i32 s3, s14, s7
	s_mul_hi_u32 s7, s14, s6
	s_add_i32 s5, s1, s0
	s_add_i32 s7, s7, s3
	s_mul_i32 s4, s15, s4
	s_mul_i32 s6, s14, s6
	s_cmpk_lg_i32 s16, 0x7a
	s_mov_b32 s0, -1
	s_cbranch_scc0 .LBB1_38
; %bb.35:
	s_add_i32 s14, s18, -1
	s_lshl_b64 s[0:1], s[6:7], 2
	s_lshl_b64 s[12:13], s[4:5], 2
	s_ashr_i32 s3, s2, 31
	s_add_u32 s12, s0, s12
	s_mul_i32 s0, s3, s14
	s_mul_hi_u32 s15, s2, s14
	s_addc_u32 s13, s1, s13
	s_add_i32 s1, s15, s0
	s_mul_i32 s0, s2, s14
	v_lshlrev_b32_e32 v1, 2, v0
	s_lshl_b64 s[0:1], s[0:1], 2
	s_delay_alu instid0(SALU_CYCLE_1)
	s_add_u32 s12, s12, s0
	s_addc_u32 s13, s13, s1
	s_lshl_b64 s[0:1], s[10:11], 2
	v_sub_nc_u32_e32 v4, s19, v1
	s_add_u32 s0, s12, s0
	s_addc_u32 s1, s13, s1
	s_add_u32 s0, s8, s0
	s_addc_u32 s1, s9, s1
	v_add_co_u32 v1, s0, s0, v1
	s_lshl_b64 s[12:13], s[2:3], 2
	v_add_co_ci_u32_e64 v2, null, s1, 0, s0
	v_add_nc_u32_e32 v4, -4, v4
	s_sub_u32 s1, 0, s12
	s_subb_u32 s12, 0, s13
	s_mov_b32 s3, 0
	s_mov_b32 s13, s18
.LBB1_36:                               ; =>This Inner Loop Header: Depth=1
	ds_load_b32 v5, v4
	s_add_i32 s13, s13, -1
	v_add_nc_u32_e32 v4, s19, v4
	v_cmp_le_i32_e32 vcc_lo, s13, v0
	s_or_b32 s3, vcc_lo, s3
	s_waitcnt lgkmcnt(0)
	global_store_b32 v[1:2], v5, off
	v_add_co_u32 v1, s0, v1, s1
	s_delay_alu instid0(VALU_DEP_1)
	v_add_co_ci_u32_e64 v2, s0, s12, v2, s0
	s_and_not1_b32 exec_lo, exec_lo, s3
	s_cbranch_execnz .LBB1_36
; %bb.37:
	s_or_b32 exec_lo, exec_lo, s3
	s_mov_b32 s0, 0
.LBB1_38:
	s_delay_alu instid0(SALU_CYCLE_1)
	s_and_b32 vcc_lo, exec_lo, s0
	s_cbranch_vccz .LBB1_46
; %bb.39:
	v_dual_mov_b32 v4, 0 :: v_dual_add_nc_u32 v5, 1, v0
	s_ashr_i32 s3, s2, 31
	s_mov_b32 s1, exec_lo
	v_cmpx_lt_u32_e32 2, v0
	s_cbranch_execz .LBB1_43
; %bb.40:
	s_lshl_b64 s[12:13], s[4:5], 2
	v_and_b32_e32 v4, 28, v5
	s_add_u32 s0, s8, s12
	s_addc_u32 s14, s9, s13
	s_lshl_b64 s[12:13], s[10:11], 2
	v_mov_b32_e32 v6, v3
	s_add_u32 s0, s0, s12
	s_addc_u32 s14, s14, s13
	s_lshl_b64 s[12:13], s[6:7], 2
	s_mul_hi_i32 s20, s2, 12
	s_add_u32 s0, s0, s12
	s_addc_u32 s12, s14, s13
	v_add_co_u32 v1, s0, s0, v3
	s_delay_alu instid0(VALU_DEP_1)
	v_add_co_ci_u32_e64 v2, null, s12, 0, s0
	s_mul_i32 s21, s2, 12
	s_lshl_b64 s[12:13], s[2:3], 4
	s_lshl_b64 s[14:15], s[2:3], 3
	;; [unrolled: 1-line block ×3, first 2 shown]
	s_lshl_b32 s22, s18, 4
	s_lshl_b32 s23, s18, 3
	s_mul_i32 s25, s18, 12
	s_mov_b32 s24, 0
	s_mov_b32 s26, 0
	s_set_inst_prefetch_distance 0x1
	.p2align	6
.LBB1_41:                               ; =>This Inner Loop Header: Depth=1
	ds_load_b32 v13, v6
	v_add_nc_u32_e32 v9, s19, v6
	v_add_nc_u32_e32 v10, s23, v6
	;; [unrolled: 1-line block ×3, first 2 shown]
	v_add_co_u32 v7, vcc_lo, v1, s16
	ds_load_b32 v14, v9
	ds_load_b32 v15, v10
	;; [unrolled: 1-line block ×3, first 2 shown]
	v_add_co_ci_u32_e32 v8, vcc_lo, s17, v2, vcc_lo
	v_add_co_u32 v9, vcc_lo, v1, s14
	v_add_co_ci_u32_e32 v10, vcc_lo, s15, v2, vcc_lo
	v_add_co_u32 v11, vcc_lo, v1, s21
	s_add_i32 s26, s26, 4
	v_add_co_ci_u32_e32 v12, vcc_lo, s20, v2, vcc_lo
	v_cmp_eq_u32_e32 vcc_lo, s26, v4
	v_add_nc_u32_e32 v6, s22, v6
	s_waitcnt lgkmcnt(3)
	global_store_b32 v[1:2], v13, off
	v_add_co_u32 v1, s0, v1, s12
	s_delay_alu instid0(VALU_DEP_1)
	v_add_co_ci_u32_e64 v2, s0, s13, v2, s0
	s_or_b32 s24, vcc_lo, s24
	s_waitcnt lgkmcnt(2)
	global_store_b32 v[7:8], v14, off
	s_waitcnt lgkmcnt(1)
	global_store_b32 v[9:10], v15, off
	;; [unrolled: 2-line block ×3, first 2 shown]
	s_and_not1_b32 exec_lo, exec_lo, s24
	s_cbranch_execnz .LBB1_41
; %bb.42:
	s_set_inst_prefetch_distance 0x2
	s_or_b32 exec_lo, exec_lo, s24
.LBB1_43:
	s_delay_alu instid0(SALU_CYCLE_1) | instskip(SKIP_2) | instid1(VALU_DEP_1)
	s_or_b32 exec_lo, exec_lo, s1
	v_and_b32_e32 v5, 3, v5
	s_mov_b32 s1, 0
	v_cmp_ne_u32_e32 vcc_lo, 0, v5
	s_and_b32 exec_lo, exec_lo, vcc_lo
	s_cbranch_execz .LBB1_46
; %bb.44:
	v_mad_i64_i32 v[1:2], null, s2, v4, 0
	s_lshl_b64 s[6:7], s[6:7], 2
	s_lshl_b64 s[4:5], s[4:5], 2
	v_mul_lo_u32 v4, v4, s18
	s_add_u32 s0, s6, s4
	s_addc_u32 s6, s7, s5
	s_lshl_b64 s[4:5], s[10:11], 2
	s_delay_alu instid0(VALU_DEP_2) | instskip(SKIP_4) | instid1(VALU_DEP_2)
	v_lshlrev_b64 v[1:2], 2, v[1:2]
	s_add_u32 s0, s4, s0
	s_addc_u32 s4, s5, s6
	s_lshl_b64 s[2:3], s[2:3], 2
	v_add_lshl_u32 v0, v0, v4, 2
	v_add_co_u32 v1, vcc_lo, s0, v1
	v_add_co_ci_u32_e32 v2, vcc_lo, s4, v2, vcc_lo
	s_delay_alu instid0(VALU_DEP_2) | instskip(NEXT) | instid1(VALU_DEP_2)
	v_add_co_u32 v1, vcc_lo, v1, v3
	v_add_co_ci_u32_e32 v2, vcc_lo, 0, v2, vcc_lo
	s_delay_alu instid0(VALU_DEP_2) | instskip(NEXT) | instid1(VALU_DEP_2)
	v_add_co_u32 v1, vcc_lo, s8, v1
	v_add_co_ci_u32_e32 v2, vcc_lo, s9, v2, vcc_lo
.LBB1_45:                               ; =>This Inner Loop Header: Depth=1
	ds_load_b32 v3, v0
	v_add_nc_u32_e32 v5, -1, v5
	v_add_nc_u32_e32 v0, s19, v0
	s_delay_alu instid0(VALU_DEP_2) | instskip(SKIP_4) | instid1(VALU_DEP_1)
	v_cmp_eq_u32_e32 vcc_lo, 0, v5
	s_or_b32 s1, vcc_lo, s1
	s_waitcnt lgkmcnt(0)
	global_store_b32 v[1:2], v3, off
	v_add_co_u32 v1, s0, v1, s2
	v_add_co_ci_u32_e64 v2, s0, s3, v2, s0
	s_and_not1_b32 exec_lo, exec_lo, s1
	s_cbranch_execnz .LBB1_45
.LBB1_46:
	s_nop 0
	s_sendmsg sendmsg(MSG_DEALLOC_VGPRS)
	s_endpgm
	.section	.rodata,"a",@progbits
	.p2align	6, 0x0
	.amdhsa_kernel _ZL26rocblas_trtri_small_kernelILi16EfPKfPfEv13rocblas_fill_17rocblas_diagonal_iT1_lillT2_lilli
		.amdhsa_group_segment_fixed_size 1024
		.amdhsa_private_segment_fixed_size 0
		.amdhsa_kernarg_size 100
		.amdhsa_user_sgpr_count 14
		.amdhsa_user_sgpr_dispatch_ptr 0
		.amdhsa_user_sgpr_queue_ptr 0
		.amdhsa_user_sgpr_kernarg_segment_ptr 1
		.amdhsa_user_sgpr_dispatch_id 0
		.amdhsa_user_sgpr_private_segment_size 0
		.amdhsa_wavefront_size32 1
		.amdhsa_uses_dynamic_stack 0
		.amdhsa_enable_private_segment 0
		.amdhsa_system_sgpr_workgroup_id_x 1
		.amdhsa_system_sgpr_workgroup_id_y 0
		.amdhsa_system_sgpr_workgroup_id_z 1
		.amdhsa_system_sgpr_workgroup_info 0
		.amdhsa_system_vgpr_workitem_id 0
		.amdhsa_next_free_vgpr 17
		.amdhsa_next_free_sgpr 41
		.amdhsa_reserve_vcc 1
		.amdhsa_float_round_mode_32 0
		.amdhsa_float_round_mode_16_64 0
		.amdhsa_float_denorm_mode_32 3
		.amdhsa_float_denorm_mode_16_64 3
		.amdhsa_dx10_clamp 1
		.amdhsa_ieee_mode 1
		.amdhsa_fp16_overflow 0
		.amdhsa_workgroup_processor_mode 1
		.amdhsa_memory_ordered 1
		.amdhsa_forward_progress 0
		.amdhsa_shared_vgpr_count 0
		.amdhsa_exception_fp_ieee_invalid_op 0
		.amdhsa_exception_fp_denorm_src 0
		.amdhsa_exception_fp_ieee_div_zero 0
		.amdhsa_exception_fp_ieee_overflow 0
		.amdhsa_exception_fp_ieee_underflow 0
		.amdhsa_exception_fp_ieee_inexact 0
		.amdhsa_exception_int_div_zero 0
	.end_amdhsa_kernel
	.section	.text._ZL26rocblas_trtri_small_kernelILi16EfPKfPfEv13rocblas_fill_17rocblas_diagonal_iT1_lillT2_lilli,"axG",@progbits,_ZL26rocblas_trtri_small_kernelILi16EfPKfPfEv13rocblas_fill_17rocblas_diagonal_iT1_lillT2_lilli,comdat
.Lfunc_end1:
	.size	_ZL26rocblas_trtri_small_kernelILi16EfPKfPfEv13rocblas_fill_17rocblas_diagonal_iT1_lillT2_lilli, .Lfunc_end1-_ZL26rocblas_trtri_small_kernelILi16EfPKfPfEv13rocblas_fill_17rocblas_diagonal_iT1_lillT2_lilli
                                        ; -- End function
	.section	.AMDGPU.csdata,"",@progbits
; Kernel info:
; codeLenInByte = 2284
; NumSgprs: 43
; NumVgprs: 17
; ScratchSize: 0
; MemoryBound: 0
; FloatMode: 240
; IeeeMode: 1
; LDSByteSize: 1024 bytes/workgroup (compile time only)
; SGPRBlocks: 5
; VGPRBlocks: 2
; NumSGPRsForWavesPerEU: 43
; NumVGPRsForWavesPerEU: 17
; Occupancy: 16
; WaveLimiterHint : 0
; COMPUTE_PGM_RSRC2:SCRATCH_EN: 0
; COMPUTE_PGM_RSRC2:USER_SGPR: 14
; COMPUTE_PGM_RSRC2:TRAP_HANDLER: 0
; COMPUTE_PGM_RSRC2:TGID_X_EN: 1
; COMPUTE_PGM_RSRC2:TGID_Y_EN: 0
; COMPUTE_PGM_RSRC2:TGID_Z_EN: 1
; COMPUTE_PGM_RSRC2:TIDIG_COMP_CNT: 0
	.section	.text._ZL29rocblas_trtri_diagonal_kernelILi16EfPKfPfEv13rocblas_fill_17rocblas_diagonal_iT1_lillT2_lilli,"axG",@progbits,_ZL29rocblas_trtri_diagonal_kernelILi16EfPKfPfEv13rocblas_fill_17rocblas_diagonal_iT1_lillT2_lilli,comdat
	.globl	_ZL29rocblas_trtri_diagonal_kernelILi16EfPKfPfEv13rocblas_fill_17rocblas_diagonal_iT1_lillT2_lilli ; -- Begin function _ZL29rocblas_trtri_diagonal_kernelILi16EfPKfPfEv13rocblas_fill_17rocblas_diagonal_iT1_lillT2_lilli
	.p2align	8
	.type	_ZL29rocblas_trtri_diagonal_kernelILi16EfPKfPfEv13rocblas_fill_17rocblas_diagonal_iT1_lillT2_lilli,@function
_ZL29rocblas_trtri_diagonal_kernelILi16EfPKfPfEv13rocblas_fill_17rocblas_diagonal_iT1_lillT2_lilli: ; @_ZL29rocblas_trtri_diagonal_kernelILi16EfPKfPfEv13rocblas_fill_17rocblas_diagonal_iT1_lillT2_lilli
; %bb.0:
	s_load_b128 s[8:11], s[0:1], 0x0
	s_waitcnt lgkmcnt(0)
	s_ashr_i32 s2, s10, 31
	s_delay_alu instid0(SALU_CYCLE_1) | instskip(NEXT) | instid1(SALU_CYCLE_1)
	s_lshr_b32 s2, s2, 27
	s_add_i32 s2, s10, s2
	s_delay_alu instid0(SALU_CYCLE_1) | instskip(NEXT) | instid1(SALU_CYCLE_1)
	s_ashr_i32 s2, s2, 5
	v_cvt_f32_u32_e32 v1, s2
	s_sub_i32 s4, 0, s2
	s_delay_alu instid0(VALU_DEP_1) | instskip(SKIP_2) | instid1(VALU_DEP_1)
	v_rcp_iflag_f32_e32 v1, v1
	s_waitcnt_depctr 0xfff
	v_mul_f32_e32 v1, 0x4f7ffffe, v1
	v_cvt_u32_f32_e32 v1, v1
	s_delay_alu instid0(VALU_DEP_1) | instskip(NEXT) | instid1(VALU_DEP_1)
	v_readfirstlane_b32 s3, v1
	s_mul_i32 s4, s4, s3
	s_delay_alu instid0(SALU_CYCLE_1) | instskip(NEXT) | instid1(SALU_CYCLE_1)
	s_mul_hi_u32 s4, s3, s4
	s_add_i32 s3, s3, s4
	s_delay_alu instid0(SALU_CYCLE_1) | instskip(NEXT) | instid1(SALU_CYCLE_1)
	s_mul_hi_u32 s3, s14, s3
	s_mul_i32 s4, s3, s2
	s_add_i32 s5, s3, 1
	s_sub_i32 s4, s14, s4
	s_delay_alu instid0(SALU_CYCLE_1)
	s_sub_i32 s6, s4, s2
	s_cmp_ge_u32 s4, s2
	s_cselect_b32 s3, s5, s3
	s_cselect_b32 s4, s6, s4
	s_add_i32 s5, s3, 1
	s_cmp_ge_u32 s4, s2
	s_cselect_b32 s29, s5, s3
	s_delay_alu instid0(SALU_CYCLE_1) | instskip(NEXT) | instid1(SALU_CYCLE_1)
	s_mul_i32 s2, s29, s2
	s_sub_i32 s30, s14, s2
	s_delay_alu instid0(SALU_CYCLE_1) | instskip(NEXT) | instid1(SALU_CYCLE_1)
	s_lshl_b32 s2, s30, 4
	s_cmp_eq_u32 s10, s2
	s_cbranch_scc1 .LBB2_101
; %bb.1:
	s_sub_i32 s28, s10, s2
	v_mov_b32_e32 v1, v0
	s_min_u32 s14, s28, 16
	s_delay_alu instid0(SALU_CYCLE_1) | instskip(SKIP_4) | instid1(VALU_DEP_3)
	s_lshl_b32 s6, s14, 1
	v_cmp_gt_u32_e64 s4, s14, v0
	v_cmp_le_u32_e64 s2, s14, v0
	v_cmp_gt_u32_e64 s3, s6, v0
	v_cmp_le_u32_e32 vcc_lo, s6, v0
	s_and_saveexec_b32 s5, s2
	s_cbranch_execz .LBB2_7
; %bb.2:
                                        ; implicit-def: $vgpr1
	s_and_saveexec_b32 s7, vcc_lo
	s_delay_alu instid0(SALU_CYCLE_1)
	s_xor_b32 s7, exec_lo, s7
; %bb.3:
	v_subrev_nc_u32_e32 v1, s6, v0
; %bb.4:
	s_and_not1_saveexec_b32 s6, s7
; %bb.5:
	v_subrev_nc_u32_e32 v1, s14, v0
; %bb.6:
	s_or_b32 exec_lo, exec_lo, s6
.LBB2_7:
	s_delay_alu instid0(SALU_CYCLE_1)
	s_or_b32 exec_lo, exec_lo, s5
	s_clause 0x2
	s_load_b32 s6, s[0:1], 0x20
	s_load_b256 s[16:23], s[0:1], 0x28
	s_load_b128 s[24:27], s[0:1], 0x10
	v_cndmask_b32_e64 v2, 0, 0xc00, s3
	s_delay_alu instid0(VALU_DEP_1)
	v_cndmask_b32_e64 v7, v2, 0x800, s4
	s_waitcnt lgkmcnt(0)
	s_ashr_i32 s7, s6, 31
	s_mul_i32 s5, s15, s17
	s_mul_hi_u32 s12, s15, s16
	s_lshl_b64 s[10:11], s[6:7], 5
	s_add_i32 s5, s12, s5
	s_add_u32 s10, s10, 32
	s_addc_u32 s11, s11, 0
	s_mul_i32 s4, s15, s16
	s_mul_i32 s13, s29, s19
	s_mul_hi_u32 s16, s29, s18
	s_mul_hi_u32 s12, s10, s30
	s_mul_i32 s11, s11, s30
	s_add_i32 s13, s16, s13
	s_mul_i32 s10, s10, s30
	s_add_i32 s11, s12, s11
	s_mul_i32 s12, s29, s18
	s_and_saveexec_b32 s16, vcc_lo
	s_delay_alu instid0(SALU_CYCLE_1)
	s_xor_b32 s18, exec_lo, s16
	s_cbranch_execz .LBB2_17
; %bb.8:
	s_mul_i32 s16, s14, 3
	s_mov_b32 s19, exec_lo
	v_cmpx_gt_u32_e64 s16, v0
	s_cbranch_execz .LBB2_16
; %bb.9:
	s_cmpk_eq_i32 s8, 0x7a
	s_mov_b32 s16, -1
	s_cbranch_scc1 .LBB2_13
; %bb.10:
	s_add_i32 s34, s14, -1
	s_lshl_b32 s33, s14, 2
	s_mul_i32 s17, s14, s34
	s_lshl_b64 s[36:37], s[12:13], 2
	s_lshl_b64 s[38:39], s[4:5], 2
	s_add_i32 s16, s14, 1
	s_lshl_b32 s31, s17, 2
	s_sub_i32 s17, 0, s33
	s_add_u32 s38, s36, s38
	s_addc_u32 s39, s37, s39
	s_lshl_b64 s[36:37], s[10:11], 2
	s_mov_b32 s35, 0
	v_lshlrev_b32_e32 v3, 2, v1
	s_add_u32 s36, s38, s36
	s_addc_u32 s37, s39, s37
	s_lshl_b64 s[34:35], s[34:35], 2
	v_ashrrev_i32_e32 v2, 31, v1
	s_add_u32 s33, s33, s34
	v_add3_u32 v4, s31, v3, v7
	s_mul_i32 s31, s33, s7
	s_mul_hi_u32 s34, s33, s6
	s_addc_u32 s35, 0, s35
	s_add_i32 s31, s34, s31
	s_mul_i32 s35, s35, s6
	s_mul_i32 s33, s33, s6
	s_add_i32 s31, s31, s35
	s_add_u32 s33, s36, s33
	s_addc_u32 s31, s37, s31
	s_lshl_b64 s[34:35], s[26:27], 2
	v_lshlrev_b64 v[2:3], 2, v[1:2]
	s_add_u32 s33, s33, s34
	s_addc_u32 s31, s31, s35
	s_add_u32 s33, s24, s33
	s_addc_u32 s31, s25, s31
	s_lshl_b64 s[34:35], s[6:7], 2
	v_add_co_u32 v2, vcc_lo, s33, v2
	v_add_co_ci_u32_e32 v3, vcc_lo, s31, v3, vcc_lo
	s_sub_u32 s31, 0, s34
	s_subb_u32 s33, 0, s35
.LBB2_11:                               ; =>This Inner Loop Header: Depth=1
	global_load_b32 v5, v[2:3], off
	v_add_co_u32 v2, vcc_lo, v2, s31
	v_add_co_ci_u32_e32 v3, vcc_lo, s33, v3, vcc_lo
	s_add_i32 s16, s16, -1
	s_delay_alu instid0(SALU_CYCLE_1)
	s_cmp_gt_u32 s16, 1
	s_waitcnt vmcnt(0)
	ds_store_b32 v4, v5
	v_add_nc_u32_e32 v4, s17, v4
	s_cbranch_scc1 .LBB2_11
; %bb.12:
	s_mov_b32 s16, 0
.LBB2_13:
	s_delay_alu instid0(SALU_CYCLE_1)
	s_and_b32 vcc_lo, exec_lo, s16
	s_cbranch_vccz .LBB2_16
; %bb.14:
	v_add_nc_u32_e32 v2, s14, v1
	s_lshl_b64 s[16:17], s[4:5], 2
	v_lshl_add_u32 v4, v1, 2, v7
	s_add_u32 s31, s24, s16
	s_addc_u32 s33, s25, s17
	v_ashrrev_i32_e32 v3, 31, v2
	s_lshl_b64 s[16:17], s[26:27], 2
	s_delay_alu instid0(SALU_CYCLE_1)
	s_add_u32 s31, s31, s16
	s_addc_u32 s33, s33, s17
	s_lshl_b64 s[16:17], s[10:11], 2
	v_lshlrev_b64 v[2:3], 2, v[2:3]
	s_add_u32 s31, s31, s16
	s_addc_u32 s33, s33, s17
	s_lshl_b64 s[16:17], s[12:13], 2
	s_delay_alu instid0(SALU_CYCLE_1)
	s_add_u32 s16, s31, s16
	s_addc_u32 s17, s33, s17
	v_add_co_u32 v2, vcc_lo, s16, v2
	v_add_co_ci_u32_e32 v3, vcc_lo, s17, v3, vcc_lo
	s_lshl_b32 s31, s14, 2
	s_lshl_b64 s[16:17], s[6:7], 2
	s_mov_b32 s33, s14
.LBB2_15:                               ; =>This Inner Loop Header: Depth=1
	global_load_b32 v5, v[2:3], off
	v_add_co_u32 v2, vcc_lo, v2, s16
	v_add_co_ci_u32_e32 v3, vcc_lo, s17, v3, vcc_lo
	s_add_i32 s33, s33, -1
	s_delay_alu instid0(SALU_CYCLE_1)
	s_cmp_eq_u32 s33, 0
	s_waitcnt vmcnt(0)
	ds_store_b32 v4, v5
	v_add_nc_u32_e32 v4, s31, v4
	s_cbranch_scc0 .LBB2_15
.LBB2_16:
	s_or_b32 exec_lo, exec_lo, s19
.LBB2_17:
	s_and_not1_saveexec_b32 s16, s18
	s_cbranch_execz .LBB2_31
; %bb.18:
	v_mov_b32_e32 v2, 0
	v_mov_b32_e32 v3, 0
	s_and_saveexec_b32 s17, s2
; %bb.19:
	s_add_u32 s18, s6, 1
	s_addc_u32 s19, s7, 0
	s_mul_hi_u32 s31, s18, s14
	s_mul_i32 s19, s19, s14
	s_mul_i32 s18, s18, s14
	s_add_i32 s19, s31, s19
	s_delay_alu instid0(SALU_CYCLE_1)
	v_dual_mov_b32 v2, s18 :: v_dual_mov_b32 v3, s19
; %bb.20:
	s_or_b32 exec_lo, exec_lo, s17
	s_delay_alu instid0(VALU_DEP_1)
	v_lshlrev_b64 v[3:4], 2, v[2:3]
	s_cmpk_lg_i32 s8, 0x7a
	s_mov_b32 s17, -1
	s_cbranch_scc0 .LBB2_26
; %bb.21:
	s_lshl_b64 s[34:35], s[12:13], 2
	s_lshl_b64 s[36:37], s[4:5], 2
	s_add_i32 s17, s14, -1
	s_lshl_b32 s18, s14, 2
	s_add_u32 s19, s34, s36
	s_addc_u32 s31, s35, s37
	s_lshl_b64 s[34:35], s[10:11], 2
	s_mul_i32 s33, s7, s17
	s_add_u32 s19, s19, s34
	s_mul_hi_u32 s34, s6, s17
	s_addc_u32 s31, s31, s35
	s_add_i32 s35, s34, s33
	s_mul_i32 s34, s6, s17
	v_ashrrev_i32_e32 v2, 31, v1
	s_lshl_b64 s[34:35], s[34:35], 2
	v_sub_nc_u32_e32 v9, s17, v1
	s_add_u32 s19, s19, s34
	s_addc_u32 s31, s31, s35
	s_lshl_b64 s[34:35], s[26:27], 2
	v_lshlrev_b64 v[5:6], 2, v[1:2]
	s_add_u32 s19, s34, s19
	s_addc_u32 s31, s35, s31
	v_add_co_u32 v2, vcc_lo, s19, v3
	v_add_co_ci_u32_e32 v8, vcc_lo, s31, v4, vcc_lo
	s_lshl_b64 s[34:35], s[6:7], 2
	s_delay_alu instid0(VALU_DEP_2) | instskip(NEXT) | instid1(VALU_DEP_2)
	v_add_co_u32 v5, vcc_lo, v2, v5
	v_add_co_ci_u32_e32 v6, vcc_lo, v8, v6, vcc_lo
	v_lshl_add_u32 v2, v9, 2, v7
	s_delay_alu instid0(VALU_DEP_3) | instskip(NEXT) | instid1(VALU_DEP_3)
	v_add_co_u32 v5, vcc_lo, s24, v5
	v_add_co_ci_u32_e32 v6, vcc_lo, s25, v6, vcc_lo
	s_sub_u32 s19, 0, s34
	s_subb_u32 s31, 0, s35
	s_branch .LBB2_23
	.p2align	6
.LBB2_22:                               ;   in Loop: Header=BB2_23 Depth=1
	s_or_b32 exec_lo, exec_lo, s33
	v_add_co_u32 v5, vcc_lo, v5, s19
	s_waitcnt vmcnt(0)
	ds_store_b32 v2, v8
	v_add_nc_u32_e32 v2, s18, v2
	v_add_co_ci_u32_e32 v6, vcc_lo, s31, v6, vcc_lo
	s_add_i32 s17, s17, -1
	s_delay_alu instid0(SALU_CYCLE_1)
	s_cmp_eq_u32 s17, -1
	s_cbranch_scc1 .LBB2_25
.LBB2_23:                               ; =>This Inner Loop Header: Depth=1
	v_mov_b32_e32 v8, 0
	s_mov_b32 s33, exec_lo
	v_cmpx_ge_i32_e64 s17, v1
	s_cbranch_execz .LBB2_22
; %bb.24:                               ;   in Loop: Header=BB2_23 Depth=1
	global_load_b32 v8, v[5:6], off
	s_branch .LBB2_22
.LBB2_25:
	s_mov_b32 s17, 0
.LBB2_26:
	s_delay_alu instid0(SALU_CYCLE_1)
	s_and_b32 vcc_lo, exec_lo, s17
	s_cbranch_vccz .LBB2_31
; %bb.27:
	s_lshl_b64 s[18:19], s[12:13], 2
	s_lshl_b64 s[4:5], s[4:5], 2
	s_lshl_b32 s12, s14, 2
	s_add_u32 s13, s18, s4
	s_addc_u32 s17, s19, s5
	s_lshl_b64 s[4:5], s[10:11], 2
	v_ashrrev_i32_e32 v2, 31, v1
	s_add_u32 s10, s13, s4
	s_addc_u32 s11, s17, s5
	s_lshl_b64 s[4:5], s[26:27], 2
	s_delay_alu instid0(SALU_CYCLE_1)
	s_add_u32 s4, s4, s10
	v_lshlrev_b64 v[5:6], 2, v[1:2]
	s_addc_u32 s5, s5, s11
	v_add_co_u32 v2, vcc_lo, s4, v3
	v_add_co_ci_u32_e32 v3, vcc_lo, s5, v4, vcc_lo
	v_lshl_add_u32 v4, v1, 2, v7
	s_delay_alu instid0(VALU_DEP_3) | instskip(NEXT) | instid1(VALU_DEP_3)
	v_add_co_u32 v2, vcc_lo, v2, v5
	v_add_co_ci_u32_e32 v3, vcc_lo, v3, v6, vcc_lo
	s_lshl_b64 s[4:5], s[6:7], 2
	s_delay_alu instid0(VALU_DEP_2) | instskip(NEXT) | instid1(VALU_DEP_2)
	v_add_co_u32 v2, vcc_lo, s24, v2
	v_add_co_ci_u32_e32 v3, vcc_lo, s25, v3, vcc_lo
	s_mov_b32 s6, 0
	s_branch .LBB2_29
	.p2align	6
.LBB2_28:                               ;   in Loop: Header=BB2_29 Depth=1
	s_or_b32 exec_lo, exec_lo, s7
	v_add_co_u32 v2, vcc_lo, v2, s4
	s_waitcnt vmcnt(0)
	ds_store_b32 v4, v5
	v_add_nc_u32_e32 v4, s12, v4
	v_add_co_ci_u32_e32 v3, vcc_lo, s5, v3, vcc_lo
	s_add_i32 s6, s6, 1
	s_delay_alu instid0(SALU_CYCLE_1)
	s_cmp_eq_u32 s14, s6
	s_cbranch_scc1 .LBB2_31
.LBB2_29:                               ; =>This Inner Loop Header: Depth=1
	v_mov_b32_e32 v5, 0
	s_mov_b32 s7, exec_lo
	v_cmpx_le_i32_e64 s6, v1
	s_cbranch_execz .LBB2_28
; %bb.30:                               ;   in Loop: Header=BB2_29 Depth=1
	global_load_b32 v5, v[2:3], off
	s_branch .LBB2_28
.LBB2_31:
	s_or_b32 exec_lo, exec_lo, s16
	s_waitcnt lgkmcnt(0)
	s_barrier
	buffer_gl0_inv
	s_and_saveexec_b32 s4, s3
	s_cbranch_execz .LBB2_37
; %bb.32:
	s_add_i32 s5, s14, 1
	v_mov_b32_e32 v4, 1.0
	v_mul_i32_i24_e32 v2, s5, v1
	s_cmpk_eq_i32 s9, 0x84
	s_delay_alu instid0(VALU_DEP_1)
	v_lshl_add_u32 v2, v2, 2, v7
	s_cbranch_scc1 .LBB2_36
; %bb.33:
	ds_load_b32 v3, v2
	v_mov_b32_e32 v4, 1.0
	s_mov_b32 s5, exec_lo
	s_waitcnt lgkmcnt(0)
	v_cmpx_neq_f32_e32 0, v3
; %bb.34:
	v_div_scale_f32 v4, null, v3, v3, 1.0
	s_delay_alu instid0(VALU_DEP_1) | instskip(SKIP_2) | instid1(VALU_DEP_1)
	v_rcp_f32_e32 v5, v4
	s_waitcnt_depctr 0xfff
	v_fma_f32 v6, -v4, v5, 1.0
	v_fmac_f32_e32 v5, v6, v5
	v_div_scale_f32 v6, vcc_lo, 1.0, v3, 1.0
	s_delay_alu instid0(VALU_DEP_1) | instskip(NEXT) | instid1(VALU_DEP_1)
	v_mul_f32_e32 v8, v6, v5
	v_fma_f32 v9, -v4, v8, v6
	s_delay_alu instid0(VALU_DEP_1) | instskip(NEXT) | instid1(VALU_DEP_1)
	v_fmac_f32_e32 v8, v9, v5
	v_fma_f32 v4, -v4, v8, v6
	s_delay_alu instid0(VALU_DEP_1) | instskip(NEXT) | instid1(VALU_DEP_1)
	v_div_fmas_f32 v4, v4, v5, v8
	v_div_fixup_f32 v4, v4, v3, 1.0
; %bb.35:
	s_or_b32 exec_lo, exec_lo, s5
.LBB2_36:
	ds_store_b32 v2, v4
.LBB2_37:
	s_or_b32 exec_lo, exec_lo, s4
	s_waitcnt lgkmcnt(0)
	s_barrier
	buffer_gl0_inv
	s_and_saveexec_b32 s4, s3
	s_cbranch_execz .LBB2_49
; %bb.38:
	s_add_i32 s5, s14, 1
	v_lshlrev_b32_e32 v5, 2, v1
	v_mul_i32_i24_e32 v4, s5, v1
	s_lshl_b32 s5, s14, 2
	v_add_nc_u32_e32 v2, 4, v7
	s_add_i32 s6, s5, 4
	v_add_nc_u32_e32 v3, v7, v5
	v_lshl_add_u32 v4, v4, 2, v7
	v_add3_u32 v5, v5, s5, v7
	s_mov_b32 s7, 0
	s_branch .LBB2_40
.LBB2_39:                               ;   in Loop: Header=BB2_40 Depth=1
	s_set_inst_prefetch_distance 0x2
	v_add_nc_u32_e32 v2, s6, v2
	v_add_nc_u32_e32 v5, s5, v5
	s_cmp_eq_u32 s7, s14
	s_cbranch_scc1 .LBB2_49
.LBB2_40:                               ; =>This Loop Header: Depth=1
                                        ;     Child Loop BB2_45 Depth 2
	v_mov_b32_e32 v6, 0
	s_mul_i32 s9, s7, s14
	s_mov_b32 s10, exec_lo
	v_cmpx_lt_i32_e64 s7, v1
	s_cbranch_execz .LBB2_42
; %bb.41:                               ;   in Loop: Header=BB2_40 Depth=1
	s_lshl_b32 s11, s9, 2
	s_lshl_b32 s12, s7, 2
	v_add_nc_u32_e32 v6, s11, v3
	v_add3_u32 v8, s11, s12, v7
	ds_load_b32 v6, v6
	ds_load_b32 v8, v8
	s_waitcnt lgkmcnt(0)
	v_fma_f32 v6, v6, v8, 0
.LBB2_42:                               ;   in Loop: Header=BB2_40 Depth=1
	s_or_b32 exec_lo, exec_lo, s10
	s_add_i32 s7, s7, 1
	s_delay_alu instid0(SALU_CYCLE_1)
	s_cmp_ge_u32 s7, s14
	s_cbranch_scc1 .LBB2_39
; %bb.43:                               ;   in Loop: Header=BB2_40 Depth=1
	v_lshl_add_u32 v8, s9, 2, v3
	v_dual_mov_b32 v9, v5 :: v_dual_mov_b32 v10, v2
	s_mov_b32 s9, s7
	s_set_inst_prefetch_distance 0x1
	s_branch .LBB2_45
	.p2align	6
.LBB2_44:                               ;   in Loop: Header=BB2_45 Depth=2
	s_or_b32 exec_lo, exec_lo, s10
	v_add_nc_u32_e32 v10, 4, v10
	v_add_nc_u32_e32 v9, s5, v9
	s_add_i32 s9, s9, 1
	s_delay_alu instid0(SALU_CYCLE_1)
	s_cmp_ge_u32 s9, s14
	s_cbranch_scc1 .LBB2_39
.LBB2_45:                               ;   Parent Loop BB2_40 Depth=1
                                        ; =>  This Inner Loop Header: Depth=2
	s_mov_b32 s10, exec_lo
	v_cmpx_eq_u32_e64 s9, v1
	s_cbranch_execz .LBB2_47
; %bb.46:                               ;   in Loop: Header=BB2_45 Depth=2
	ds_load_b32 v11, v4
	s_waitcnt lgkmcnt(0)
	v_mul_f32_e64 v11, -v6, v11
	ds_store_b32 v8, v11
.LBB2_47:                               ;   in Loop: Header=BB2_45 Depth=2
	s_or_b32 exec_lo, exec_lo, s10
	s_delay_alu instid0(SALU_CYCLE_1)
	s_mov_b32 s10, exec_lo
	v_cmpx_lt_i32_e64 s9, v1
	s_cbranch_execz .LBB2_44
; %bb.48:                               ;   in Loop: Header=BB2_45 Depth=2
	ds_load_b32 v11, v9
	ds_load_b32 v12, v10
	s_waitcnt lgkmcnt(0)
	v_fmac_f32_e32 v6, v11, v12
	s_branch .LBB2_44
.LBB2_49:
	s_or_b32 exec_lo, exec_lo, s4
	s_and_b32 s4, s14, 0xffff
	v_cvt_f32_ubyte0_e32 v4, v0
	v_cvt_f32_u32_e32 v2, s4
	s_mul_i32 s4, s14, s14
	s_cmpk_lg_i32 s8, 0x7a
	v_cmp_gt_u32_e64 s4, s4, v0
	s_cselect_b32 s5, -1, 0
	v_rcp_iflag_f32_e32 v3, v2
	s_mov_b32 s9, 0
	s_waitcnt lgkmcnt(0)
	s_barrier
	buffer_gl0_inv
	v_mul_f32_e32 v3, v4, v3
	s_delay_alu instid0(VALU_DEP_1) | instskip(NEXT) | instid1(VALU_DEP_1)
	v_trunc_f32_e32 v3, v3
	v_fma_f32 v4, -v3, v2, v4
	v_cvt_u32_f32_e32 v3, v3
	s_delay_alu instid0(VALU_DEP_2) | instskip(NEXT) | instid1(VALU_DEP_2)
	v_cmp_ge_f32_e64 vcc_lo, |v4|, v2
	v_add_co_ci_u32_e32 v2, vcc_lo, 0, v3, vcc_lo
	s_and_b32 vcc_lo, exec_lo, s5
	s_delay_alu instid0(VALU_DEP_1) | instskip(SKIP_1) | instid1(VALU_DEP_2)
	v_mul_lo_u16 v3, v2, s14
	v_and_b32_e32 v9, 0xffff, v2
	v_sub_nc_u16 v3, v0, v3
	s_delay_alu instid0(VALU_DEP_1)
	v_and_b32_e32 v8, 0xffff, v3
	s_cbranch_vccz .LBB2_61
; %bb.50:
	s_mov_b32 s6, 0
                                        ; implicit-def: $vgpr0
                                        ; implicit-def: $vgpr2
	s_and_saveexec_b32 s7, s4
	s_cbranch_execz .LBB2_60
; %bb.51:
	v_add_nc_u32_e32 v4, 1, v9
	v_dual_mov_b32 v0, 0 :: v_dual_lshlrev_b32 v3, 6, v9
	v_mov_b32_e32 v2, 0
	s_mov_b32 s8, exec_lo
	v_cmpx_lt_u16_e32 6, v9
	s_cbranch_execz .LBB2_55
; %bb.52:
	v_and_b32_e32 v2, 0x7f8, v4
	v_dual_mov_b32 v0, 0 :: v_dual_lshlrev_b32 v5, 2, v8
	v_sub_nc_u32_e32 v6, 0xfe0, v3
	s_mov_b32 s10, 0
	.p2align	6
.LBB2_53:                               ; =>This Inner Loop Header: Depth=1
	ds_load_2addr_b32 v[18:19], v5 offset1:16
	ds_load_b128 v[10:13], v6 offset:16
	ds_load_b128 v[14:17], v6
	ds_load_2addr_b32 v[20:21], v5 offset0:32 offset1:48
	ds_load_2addr_b32 v[22:23], v5 offset0:64 offset1:80
	s_add_i32 s10, s10, 8
	v_subrev_nc_u32_e32 v6, 32, v6
	v_cmp_eq_u32_e32 vcc_lo, s10, v2
	s_or_b32 s9, vcc_lo, s9
	s_waitcnt lgkmcnt(3)
	v_fmac_f32_e32 v0, v18, v13
	s_delay_alu instid0(VALU_DEP_1) | instskip(SKIP_3) | instid1(VALU_DEP_1)
	v_fmac_f32_e32 v0, v19, v12
	ds_load_2addr_b32 v[12:13], v5 offset0:96 offset1:112
	s_waitcnt lgkmcnt(2)
	v_dual_fmac_f32 v0, v20, v11 :: v_dual_add_nc_u32 v5, 0x200, v5
	v_fmac_f32_e32 v0, v21, v10
	s_waitcnt lgkmcnt(1)
	s_delay_alu instid0(VALU_DEP_1) | instskip(NEXT) | instid1(VALU_DEP_1)
	v_fmac_f32_e32 v0, v22, v17
	v_fmac_f32_e32 v0, v23, v16
	s_waitcnt lgkmcnt(0)
	s_delay_alu instid0(VALU_DEP_1) | instskip(NEXT) | instid1(VALU_DEP_1)
	v_fmac_f32_e32 v0, v12, v15
	v_fmac_f32_e32 v0, v13, v14
	s_and_not1_b32 exec_lo, exec_lo, s9
	s_cbranch_execnz .LBB2_53
; %bb.54:
	s_or_b32 exec_lo, exec_lo, s9
.LBB2_55:
	s_delay_alu instid0(SALU_CYCLE_1) | instskip(SKIP_3) | instid1(VALU_DEP_1)
	s_or_b32 exec_lo, exec_lo, s8
	v_and_b32_e32 v4, 7, v4
	s_mov_b32 s9, 0
	s_mov_b32 s8, exec_lo
	v_cmpx_ne_u32_e32 0, v4
	s_cbranch_execz .LBB2_59
; %bb.56:
	v_lshl_add_u32 v3, v2, 2, v3
	v_lshlrev_b32_e32 v5, 2, v8
	s_delay_alu instid0(VALU_DEP_2) | instskip(NEXT) | instid1(VALU_DEP_2)
	v_sub_nc_u32_e32 v3, 0xffc, v3
	v_lshl_add_u32 v2, v2, 6, v5
.LBB2_57:                               ; =>This Inner Loop Header: Depth=1
	ds_load_b32 v5, v2
	ds_load_b32 v6, v3
	v_add_nc_u32_e32 v4, -1, v4
	v_add_nc_u32_e32 v3, -4, v3
	v_add_nc_u32_e32 v2, 64, v2
	s_delay_alu instid0(VALU_DEP_3)
	v_cmp_eq_u32_e32 vcc_lo, 0, v4
	s_or_b32 s9, vcc_lo, s9
	s_waitcnt lgkmcnt(0)
	v_fmac_f32_e32 v0, v5, v6
	s_and_not1_b32 exec_lo, exec_lo, s9
	s_cbranch_execnz .LBB2_57
; %bb.58:
	s_or_b32 exec_lo, exec_lo, s9
.LBB2_59:
	s_delay_alu instid0(SALU_CYCLE_1) | instskip(NEXT) | instid1(SALU_CYCLE_1)
	s_or_b32 exec_lo, exec_lo, s8
	s_mov_b32 s9, exec_lo
	v_lshlrev_b32_e32 v2, 4, v9
.LBB2_60:
	s_or_b32 exec_lo, exec_lo, s7
	s_delay_alu instid0(SALU_CYCLE_1)
	s_and_b32 vcc_lo, exec_lo, s6
	s_cbranch_vccnz .LBB2_62
	s_branch .LBB2_69
.LBB2_61:
                                        ; implicit-def: $vgpr0
                                        ; implicit-def: $vgpr2
	s_cbranch_execz .LBB2_69
.LBB2_62:
                                        ; implicit-def: $vgpr0
                                        ; implicit-def: $vgpr2
	s_and_saveexec_b32 s6, s4
	s_cbranch_execz .LBB2_68
; %bb.63:
	v_mov_b32_e32 v0, 0
	s_mov_b32 s7, exec_lo
	v_cmpx_gt_u16_e32 16, v9
	s_cbranch_execz .LBB2_67
; %bb.64:
	v_lshlrev_b32_e32 v0, 2, v8
	s_movk_i32 s8, 0x44
	v_add_nc_u32_e32 v2, -1, v9
	v_mad_u32_u24 v3, v9, s8, 0x800
	s_mov_b32 s8, 0
	v_lshl_add_u32 v4, v9, 6, v0
	v_mov_b32_e32 v0, 0
.LBB2_65:                               ; =>This Inner Loop Header: Depth=1
	ds_load_b32 v5, v4
	ds_load_b32 v6, v3
	v_add_nc_u32_e32 v2, 1, v2
	v_add_nc_u32_e32 v4, 64, v4
	;; [unrolled: 1-line block ×3, first 2 shown]
	s_delay_alu instid0(VALU_DEP_3)
	v_cmp_lt_u32_e32 vcc_lo, 14, v2
	s_or_b32 s8, vcc_lo, s8
	s_waitcnt lgkmcnt(0)
	v_fmac_f32_e32 v0, v5, v6
	s_and_not1_b32 exec_lo, exec_lo, s8
	s_cbranch_execnz .LBB2_65
; %bb.66:
	s_or_b32 exec_lo, exec_lo, s8
.LBB2_67:
	s_delay_alu instid0(SALU_CYCLE_1)
	s_or_b32 exec_lo, exec_lo, s7
	v_lshlrev_b32_e32 v2, 4, v9
	s_or_b32 s9, s9, exec_lo
.LBB2_68:
	s_or_b32 exec_lo, exec_lo, s6
.LBB2_69:
	s_and_saveexec_b32 s6, s9
	s_cbranch_execz .LBB2_71
; %bb.70:
	v_add_lshl_u32 v2, v2, v8, 2
	ds_store_b32 v2, v0 offset:1024
.LBB2_71:
	s_or_b32 exec_lo, exec_lo, s6
	s_clause 0x1
	s_load_b128 s[8:11], s[0:1], 0x50
	s_load_b32 s6, s[0:1], 0x48
	s_waitcnt lgkmcnt(0)
	s_barrier
	buffer_gl0_inv
	s_mul_i32 s1, s15, s9
	s_mul_hi_u32 s7, s15, s8
	s_mul_i32 s0, s15, s8
	s_add_i32 s1, s7, s1
	s_ashr_i32 s7, s6, 31
	s_lshl_b64 s[8:9], s[0:1], 2
	s_mul_i32 s11, s29, s11
	s_add_u32 s12, s20, s8
	s_addc_u32 s13, s21, s9
	s_lshl_b64 s[0:1], s[22:23], 2
	s_delay_alu instid0(SALU_CYCLE_1) | instskip(SKIP_2) | instid1(SALU_CYCLE_1)
	s_add_u32 s15, s12, s0
	s_addc_u32 s16, s13, s1
	s_lshl_b64 s[12:13], s[6:7], 5
	s_add_u32 s12, s12, 32
	s_addc_u32 s13, s13, 0
	s_mul_hi_u32 s17, s12, s30
	s_mul_i32 s13, s13, s30
	s_mul_i32 s12, s12, s30
	s_add_i32 s13, s17, s13
	s_mul_hi_u32 s17, s29, s10
	s_lshl_b64 s[12:13], s[12:13], 2
	s_mul_i32 s10, s29, s10
	s_add_u32 s15, s15, s12
	s_addc_u32 s16, s16, s13
	s_add_i32 s11, s17, s11
	s_mov_b32 s17, -1
	s_lshl_b64 s[10:11], s[10:11], 2
	s_delay_alu instid0(SALU_CYCLE_1)
	s_add_u32 s15, s15, s10
	s_addc_u32 s16, s16, s11
	s_and_b32 vcc_lo, exec_lo, s5
	s_cbranch_vccnz .LBB2_74
; %bb.72:
	s_and_not1_b32 vcc_lo, exec_lo, s17
	s_cbranch_vccz .LBB2_79
.LBB2_73:
	s_and_saveexec_b32 s4, s3
	s_cbranch_execnz .LBB2_90
	s_branch .LBB2_101
.LBB2_74:
	s_and_saveexec_b32 s17, s4
	s_cbranch_execz .LBB2_78
; %bb.75:
	v_sub_nc_u32_e32 v0, s14, v8
	v_mad_u32_u24 v4, s14, v9, v8
	v_add_nc_u32_e32 v3, -1, v8
	s_lshl_b32 s19, s14, 2
	s_mov_b32 s18, 0
	v_mul_i32_i24_e32 v2, s14, v0
	v_lshlrev_b32_e32 v0, 2, v8
	v_lshl_add_u32 v4, v4, 2, 0x400
	s_sub_i32 s19, 0, s19
	s_delay_alu instid0(VALU_DEP_3) | instskip(NEXT) | instid1(VALU_DEP_1)
	v_lshlrev_b32_e32 v2, 2, v2
	v_sub_nc_u32_e32 v2, v2, v0
	s_delay_alu instid0(VALU_DEP_1)
	v_dual_mov_b32 v2, 0 :: v_dual_add_nc_u32 v5, 0x7fc, v2
.LBB2_76:                               ; =>This Inner Loop Header: Depth=1
	ds_load_b32 v6, v5
	ds_load_b32 v10, v4
	v_add_nc_u32_e32 v3, 1, v3
	v_add_nc_u32_e32 v4, 4, v4
	;; [unrolled: 1-line block ×3, first 2 shown]
	s_delay_alu instid0(VALU_DEP_3)
	v_cmp_lt_u32_e32 vcc_lo, 14, v3
	s_or_b32 s18, vcc_lo, s18
	s_waitcnt lgkmcnt(0)
	v_fma_f32 v2, -v6, v10, v2
	s_and_not1_b32 exec_lo, exec_lo, s18
	s_cbranch_execnz .LBB2_76
; %bb.77:
	s_or_b32 exec_lo, exec_lo, s18
	v_mad_i64_i32 v[3:4], null, v9, s6, 0
	s_mul_hi_i32 s19, s14, s6
	s_mul_i32 s18, s14, s6
	s_delay_alu instid0(SALU_CYCLE_1) | instskip(NEXT) | instid1(SALU_CYCLE_1)
	s_lshl_b64 s[18:19], s[18:19], 2
	s_add_u32 s18, s15, s18
	s_delay_alu instid0(VALU_DEP_1) | instskip(SKIP_2) | instid1(VALU_DEP_1)
	v_lshlrev_b64 v[3:4], 2, v[3:4]
	s_addc_u32 s19, s16, s19
	v_add_co_u32 v0, s18, s18, v0
	v_add_co_ci_u32_e64 v5, null, s19, 0, s18
	s_delay_alu instid0(VALU_DEP_2) | instskip(NEXT) | instid1(VALU_DEP_2)
	v_add_co_u32 v3, vcc_lo, v0, v3
	v_add_co_ci_u32_e32 v4, vcc_lo, v5, v4, vcc_lo
	global_store_b32 v[3:4], v2, off
.LBB2_78:
	s_or_b32 exec_lo, exec_lo, s17
	s_cbranch_execnz .LBB2_73
.LBB2_79:
	s_and_saveexec_b32 s17, s4
	s_cbranch_execz .LBB2_89
; %bb.80:
	v_mul_u32_u24_e32 v10, s14, v9
	v_dual_mov_b32 v11, 0 :: v_dual_add_nc_u32 v12, 1, v8
	v_mov_b32_e32 v6, 0
	s_mov_b32 s4, exec_lo
	v_cmpx_lt_u16_e32 6, v8
	s_cbranch_execz .LBB2_84
; %bb.81:
	v_lshl_add_u32 v0, v8, 2, 0xc00
	v_and_b32_e32 v11, 56, v12
	v_lshl_add_u32 v13, v10, 2, 0x400
	s_lshl_b32 s19, s14, 5
	s_mov_b32 s18, 0
	v_mad_u64_u32 v[2:3], null, s14, 12, v[0:1]
	v_mad_u64_u32 v[3:4], null, s14, 20, v[0:1]
	;; [unrolled: 1-line block ×4, first 2 shown]
	v_mov_b32_e32 v6, 0
	v_lshl_add_u32 v14, s14, 2, v0
	v_lshl_add_u32 v15, s14, 3, v0
	;; [unrolled: 1-line block ×3, first 2 shown]
	s_mov_b32 s22, 0
.LBB2_82:                               ; =>This Inner Loop Header: Depth=1
	ds_load_b32 v25, v0
	ds_load_2addr_b32 v[17:18], v13 offset1:1
	ds_load_b32 v26, v14
	ds_load_2addr_b32 v[19:20], v13 offset0:2 offset1:3
	ds_load_b32 v27, v15
	ds_load_b32 v28, v16
	;; [unrolled: 1-line block ×5, first 2 shown]
	ds_load_2addr_b32 v[21:22], v13 offset0:4 offset1:5
	ds_load_2addr_b32 v[23:24], v13 offset0:6 offset1:7
	ds_load_b32 v32, v5
	s_add_i32 s22, s22, 8
	v_add_nc_u32_e32 v13, 32, v13
	v_cmp_eq_u32_e32 vcc_lo, s22, v11
	v_add_nc_u32_e32 v14, s19, v14
	v_add_nc_u32_e32 v15, s19, v15
	;; [unrolled: 1-line block ×6, first 2 shown]
	s_waitcnt lgkmcnt(10)
	v_fma_f32 v6, -v25, v17, v6
	v_add_nc_u32_e32 v5, s19, v5
	v_add_nc_u32_e32 v0, s19, v0
	s_or_b32 s18, vcc_lo, s18
	s_waitcnt lgkmcnt(9)
	v_fma_f32 v6, -v26, v18, v6
	s_waitcnt lgkmcnt(7)
	s_delay_alu instid0(VALU_DEP_1) | instskip(SKIP_1) | instid1(VALU_DEP_1)
	v_fma_f32 v6, -v27, v19, v6
	s_waitcnt lgkmcnt(5)
	v_fma_f32 v6, -v29, v20, v6
	s_waitcnt lgkmcnt(2)
	s_delay_alu instid0(VALU_DEP_1) | instskip(NEXT) | instid1(VALU_DEP_1)
	v_fma_f32 v6, -v28, v21, v6
	v_fma_f32 v6, -v30, v22, v6
	s_waitcnt lgkmcnt(1)
	s_delay_alu instid0(VALU_DEP_1) | instskip(SKIP_1) | instid1(VALU_DEP_1)
	v_fma_f32 v6, -v31, v23, v6
	s_waitcnt lgkmcnt(0)
	v_fma_f32 v6, -v32, v24, v6
	s_and_not1_b32 exec_lo, exec_lo, s18
	s_cbranch_execnz .LBB2_82
; %bb.83:
	s_or_b32 exec_lo, exec_lo, s18
.LBB2_84:
	s_delay_alu instid0(SALU_CYCLE_1) | instskip(SKIP_3) | instid1(VALU_DEP_1)
	s_or_b32 exec_lo, exec_lo, s4
	v_and_b32_e32 v0, 7, v12
	s_mov_b32 s18, 0
	s_mov_b32 s4, exec_lo
	v_cmpx_ne_u32_e32 0, v0
	s_cbranch_execz .LBB2_88
; %bb.85:
	v_add_nc_u32_e32 v2, v10, v11
	v_mad_u32_u24 v3, v11, s14, v8
	s_lshl_b32 s19, s14, 2
	s_delay_alu instid0(VALU_DEP_2) | instskip(NEXT) | instid1(VALU_DEP_2)
	v_lshl_add_u32 v2, v2, 2, 0x400
	v_lshl_add_u32 v3, v3, 2, 0xc00
.LBB2_86:                               ; =>This Inner Loop Header: Depth=1
	ds_load_b32 v4, v3
	ds_load_b32 v5, v2
	v_add_nc_u32_e32 v0, -1, v0
	v_add_nc_u32_e32 v2, 4, v2
	v_add_nc_u32_e32 v3, s19, v3
	s_delay_alu instid0(VALU_DEP_3)
	v_cmp_eq_u32_e32 vcc_lo, 0, v0
	s_or_b32 s18, vcc_lo, s18
	s_waitcnt lgkmcnt(0)
	v_fma_f32 v6, -v4, v5, v6
	s_and_not1_b32 exec_lo, exec_lo, s18
	s_cbranch_execnz .LBB2_86
; %bb.87:
	s_or_b32 exec_lo, exec_lo, s18
.LBB2_88:
	s_delay_alu instid0(SALU_CYCLE_1) | instskip(SKIP_2) | instid1(VALU_DEP_2)
	s_or_b32 exec_lo, exec_lo, s4
	v_mad_i64_i32 v[2:3], null, v9, s6, 0
	v_add_lshl_u32 v0, s14, v8, 2
	v_lshlrev_b64 v[2:3], 2, v[2:3]
	s_delay_alu instid0(VALU_DEP_1) | instskip(NEXT) | instid1(VALU_DEP_2)
	v_add_co_u32 v2, vcc_lo, s15, v2
	v_add_co_ci_u32_e32 v3, vcc_lo, s16, v3, vcc_lo
	s_delay_alu instid0(VALU_DEP_2) | instskip(NEXT) | instid1(VALU_DEP_2)
	v_add_co_u32 v2, vcc_lo, v2, v0
	v_add_co_ci_u32_e32 v3, vcc_lo, 0, v3, vcc_lo
	global_store_b32 v[2:3], v6, off
.LBB2_89:
	s_or_b32 exec_lo, exec_lo, s17
	s_and_saveexec_b32 s4, s3
	s_cbranch_execz .LBB2_101
.LBB2_90:
	v_mov_b32_e32 v3, 0
	v_mov_b32_e32 v4, 0
	s_and_saveexec_b32 s3, s2
	s_cbranch_execnz .LBB2_93
; %bb.91:
	s_or_b32 exec_lo, exec_lo, s3
	s_delay_alu instid0(SALU_CYCLE_1)
	s_and_b32 vcc_lo, exec_lo, s5
	s_mov_b32 s2, -1
	s_cbranch_vccnz .LBB2_94
.LBB2_92:
	s_and_not1_b32 vcc_lo, exec_lo, s2
	s_cbranch_vccz .LBB2_98
	s_branch .LBB2_101
.LBB2_93:
	s_add_u32 s2, s6, 1
	s_addc_u32 s4, s7, 0
	s_mul_hi_u32 s17, s2, s14
	s_mul_i32 s4, s4, s14
	s_mul_i32 s18, s2, s14
	s_add_i32 s19, s17, s4
	s_delay_alu instid0(SALU_CYCLE_1) | instskip(SKIP_1) | instid1(SALU_CYCLE_1)
	v_dual_mov_b32 v3, s18 :: v_dual_mov_b32 v4, s19
	s_or_b32 exec_lo, exec_lo, s3
	s_and_b32 vcc_lo, exec_lo, s5
	s_mov_b32 s2, -1
	s_cbranch_vccz .LBB2_92
.LBB2_94:
	s_mov_b32 s2, exec_lo
	v_cmpx_gt_i32_e64 s14, v1
	s_cbranch_execz .LBB2_97
; %bb.95:
	s_cmp_lt_u32 s28, 16
	v_ashrrev_i32_e32 v2, 31, v1
	s_cselect_b32 s3, s28, 16
	s_cselect_b32 s4, 0, 0
	s_add_u32 s3, s3, -1
	s_addc_u32 s4, s4, -1
	s_mul_i32 s5, s3, s7
	s_mul_hi_u32 s17, s3, s6
	s_mul_i32 s4, s4, s6
	s_add_i32 s5, s17, s5
	v_lshlrev_b64 v[5:6], 2, v[3:4]
	s_add_i32 s5, s5, s4
	s_mul_i32 s4, s3, s6
	v_lshlrev_b64 v[8:9], 2, v[1:2]
	s_lshl_b64 s[4:5], s[4:5], 2
	v_xad_u32 v0, v1, -1, s14
	s_add_u32 s3, s4, s10
	s_addc_u32 s4, s5, s11
	s_add_u32 s3, s3, s8
	s_addc_u32 s4, s4, s9
	;; [unrolled: 2-line block ×4, first 2 shown]
	v_add_co_u32 v2, vcc_lo, s0, v5
	v_add_co_ci_u32_e32 v5, vcc_lo, s1, v6, vcc_lo
	v_lshl_add_u32 v0, v0, 2, v7
	s_delay_alu instid0(VALU_DEP_3) | instskip(NEXT) | instid1(VALU_DEP_3)
	v_add_co_u32 v2, vcc_lo, v2, v8
	v_add_co_ci_u32_e32 v6, vcc_lo, v5, v9, vcc_lo
	s_lshl_b64 s[4:5], s[6:7], 2
	s_delay_alu instid0(VALU_DEP_2) | instskip(NEXT) | instid1(VALU_DEP_2)
	v_add_co_u32 v5, vcc_lo, s20, v2
	v_add_co_ci_u32_e32 v6, vcc_lo, s21, v6, vcc_lo
	s_sub_u32 s3, 0, s4
	s_mov_b32 s1, 0
	s_subb_u32 s4, 0, s5
	s_lshl_b32 s5, s14, 2
	s_mov_b32 s8, s14
.LBB2_96:                               ; =>This Inner Loop Header: Depth=1
	ds_load_b32 v2, v0
	s_add_i32 s8, s8, -1
	v_add_nc_u32_e32 v0, s5, v0
	v_cmp_le_i32_e32 vcc_lo, s8, v1
	s_or_b32 s1, vcc_lo, s1
	s_waitcnt lgkmcnt(0)
	global_store_b32 v[5:6], v2, off
	v_add_co_u32 v5, s0, v5, s3
	s_delay_alu instid0(VALU_DEP_1)
	v_add_co_ci_u32_e64 v6, s0, s4, v6, s0
	s_and_not1_b32 exec_lo, exec_lo, s1
	s_cbranch_execnz .LBB2_96
.LBB2_97:
	s_or_b32 exec_lo, exec_lo, s2
	s_cbranch_execnz .LBB2_101
.LBB2_98:
	v_cmp_lt_i32_e32 vcc_lo, -1, v1
	s_and_b32 exec_lo, exec_lo, vcc_lo
	s_cbranch_execz .LBB2_101
; %bb.99:
	v_mov_b32_e32 v2, 0
	v_lshlrev_b64 v[3:4], 2, v[3:4]
	v_lshl_add_u32 v0, v1, 2, v7
	s_lshl_b64 s[2:3], s[6:7], 2
	s_lshl_b32 s1, s14, 2
	v_lshlrev_b64 v[5:6], 2, v[1:2]
	v_add_nc_u32_e32 v1, 1, v1
	v_add_co_u32 v2, vcc_lo, s15, v3
	v_add_co_ci_u32_e32 v3, vcc_lo, s16, v4, vcc_lo
	s_mov_b32 s4, 0
	s_delay_alu instid0(VALU_DEP_2) | instskip(NEXT) | instid1(VALU_DEP_2)
	v_add_co_u32 v2, vcc_lo, v2, v5
	v_add_co_ci_u32_e32 v3, vcc_lo, v3, v6, vcc_lo
.LBB2_100:                              ; =>This Inner Loop Header: Depth=1
	ds_load_b32 v4, v0
	v_add_nc_u32_e32 v1, -1, v1
	v_add_nc_u32_e32 v0, s1, v0
	s_delay_alu instid0(VALU_DEP_2) | instskip(SKIP_4) | instid1(VALU_DEP_1)
	v_cmp_eq_u32_e32 vcc_lo, 0, v1
	s_or_b32 s4, vcc_lo, s4
	s_waitcnt lgkmcnt(0)
	global_store_b32 v[2:3], v4, off
	v_add_co_u32 v2, s0, v2, s2
	v_add_co_ci_u32_e64 v3, s0, s3, v3, s0
	s_and_not1_b32 exec_lo, exec_lo, s4
	s_cbranch_execnz .LBB2_100
.LBB2_101:
	s_nop 0
	s_sendmsg sendmsg(MSG_DEALLOC_VGPRS)
	s_endpgm
	.section	.rodata,"a",@progbits
	.p2align	6, 0x0
	.amdhsa_kernel _ZL29rocblas_trtri_diagonal_kernelILi16EfPKfPfEv13rocblas_fill_17rocblas_diagonal_iT1_lillT2_lilli
		.amdhsa_group_segment_fixed_size 4096
		.amdhsa_private_segment_fixed_size 0
		.amdhsa_kernarg_size 100
		.amdhsa_user_sgpr_count 14
		.amdhsa_user_sgpr_dispatch_ptr 0
		.amdhsa_user_sgpr_queue_ptr 0
		.amdhsa_user_sgpr_kernarg_segment_ptr 1
		.amdhsa_user_sgpr_dispatch_id 0
		.amdhsa_user_sgpr_private_segment_size 0
		.amdhsa_wavefront_size32 1
		.amdhsa_uses_dynamic_stack 0
		.amdhsa_enable_private_segment 0
		.amdhsa_system_sgpr_workgroup_id_x 1
		.amdhsa_system_sgpr_workgroup_id_y 0
		.amdhsa_system_sgpr_workgroup_id_z 1
		.amdhsa_system_sgpr_workgroup_info 0
		.amdhsa_system_vgpr_workitem_id 0
		.amdhsa_next_free_vgpr 33
		.amdhsa_next_free_sgpr 40
		.amdhsa_reserve_vcc 1
		.amdhsa_float_round_mode_32 0
		.amdhsa_float_round_mode_16_64 0
		.amdhsa_float_denorm_mode_32 3
		.amdhsa_float_denorm_mode_16_64 3
		.amdhsa_dx10_clamp 1
		.amdhsa_ieee_mode 1
		.amdhsa_fp16_overflow 0
		.amdhsa_workgroup_processor_mode 1
		.amdhsa_memory_ordered 1
		.amdhsa_forward_progress 0
		.amdhsa_shared_vgpr_count 0
		.amdhsa_exception_fp_ieee_invalid_op 0
		.amdhsa_exception_fp_denorm_src 0
		.amdhsa_exception_fp_ieee_div_zero 0
		.amdhsa_exception_fp_ieee_overflow 0
		.amdhsa_exception_fp_ieee_underflow 0
		.amdhsa_exception_fp_ieee_inexact 0
		.amdhsa_exception_int_div_zero 0
	.end_amdhsa_kernel
	.section	.text._ZL29rocblas_trtri_diagonal_kernelILi16EfPKfPfEv13rocblas_fill_17rocblas_diagonal_iT1_lillT2_lilli,"axG",@progbits,_ZL29rocblas_trtri_diagonal_kernelILi16EfPKfPfEv13rocblas_fill_17rocblas_diagonal_iT1_lillT2_lilli,comdat
.Lfunc_end2:
	.size	_ZL29rocblas_trtri_diagonal_kernelILi16EfPKfPfEv13rocblas_fill_17rocblas_diagonal_iT1_lillT2_lilli, .Lfunc_end2-_ZL29rocblas_trtri_diagonal_kernelILi16EfPKfPfEv13rocblas_fill_17rocblas_diagonal_iT1_lillT2_lilli
                                        ; -- End function
	.section	.AMDGPU.csdata,"",@progbits
; Kernel info:
; codeLenInByte = 4180
; NumSgprs: 42
; NumVgprs: 33
; ScratchSize: 0
; MemoryBound: 0
; FloatMode: 240
; IeeeMode: 1
; LDSByteSize: 4096 bytes/workgroup (compile time only)
; SGPRBlocks: 5
; VGPRBlocks: 4
; NumSGPRsForWavesPerEU: 42
; NumVGPRsForWavesPerEU: 33
; Occupancy: 16
; WaveLimiterHint : 0
; COMPUTE_PGM_RSRC2:SCRATCH_EN: 0
; COMPUTE_PGM_RSRC2:USER_SGPR: 14
; COMPUTE_PGM_RSRC2:TRAP_HANDLER: 0
; COMPUTE_PGM_RSRC2:TGID_X_EN: 1
; COMPUTE_PGM_RSRC2:TGID_Y_EN: 0
; COMPUTE_PGM_RSRC2:TGID_Z_EN: 1
; COMPUTE_PGM_RSRC2:TIDIG_COMP_CNT: 0
	.section	.text._ZL30rocblas_trtri_remainder_kernelILi16EfPKfPfEv13rocblas_fill_17rocblas_diagonal_iT1_lillT2_lilli,"axG",@progbits,_ZL30rocblas_trtri_remainder_kernelILi16EfPKfPfEv13rocblas_fill_17rocblas_diagonal_iT1_lillT2_lilli,comdat
	.globl	_ZL30rocblas_trtri_remainder_kernelILi16EfPKfPfEv13rocblas_fill_17rocblas_diagonal_iT1_lillT2_lilli ; -- Begin function _ZL30rocblas_trtri_remainder_kernelILi16EfPKfPfEv13rocblas_fill_17rocblas_diagonal_iT1_lillT2_lilli
	.p2align	8
	.type	_ZL30rocblas_trtri_remainder_kernelILi16EfPKfPfEv13rocblas_fill_17rocblas_diagonal_iT1_lillT2_lilli,@function
_ZL30rocblas_trtri_remainder_kernelILi16EfPKfPfEv13rocblas_fill_17rocblas_diagonal_iT1_lillT2_lilli: ; @_ZL30rocblas_trtri_remainder_kernelILi16EfPKfPfEv13rocblas_fill_17rocblas_diagonal_iT1_lillT2_lilli
; %bb.0:
	s_load_b128 s[16:19], s[0:1], 0x0
	s_waitcnt lgkmcnt(0)
	s_cmp_lt_i32 s18, 1
	s_cbranch_scc1 .LBB3_46
; %bb.1:
	s_load_b256 s[4:11], s[0:1], 0x28
	v_cmp_le_u32_e64 s3, s18, v0
	v_cmp_gt_u32_e64 s2, s18, v0
	s_delay_alu instid0(VALU_DEP_1)
	s_and_saveexec_b32 s19, s2
	s_cbranch_execz .LBB3_14
; %bb.2:
	s_clause 0x1
	s_load_b128 s[20:23], s[0:1], 0x10
	s_load_b32 s12, s[0:1], 0x20
	s_waitcnt lgkmcnt(0)
	s_mul_i32 s5, s15, s5
	s_mul_hi_u32 s13, s15, s4
	s_mul_i32 s24, s15, s4
	s_add_i32 s25, s13, s5
	s_mul_i32 s5, s14, s7
	s_mul_hi_u32 s7, s14, s6
	s_mul_i32 s6, s14, s6
	s_add_i32 s7, s7, s5
	s_cmpk_lg_i32 s16, 0x7a
	s_mov_b32 s4, -1
	s_cbranch_scc0 .LBB3_6
; %bb.3:
	s_ashr_i32 s13, s12, 31
	s_lshl_b32 s5, s18, 2
	s_ashr_i32 s4, s18, 31
	s_add_u32 s26, s18, -1
	s_addc_u32 s4, s4, -1
	s_mul_i32 s27, s26, s13
	s_mul_hi_u32 s28, s26, s12
	s_mul_i32 s4, s4, s12
	s_add_i32 s27, s28, s27
	s_mul_i32 s26, s26, s12
	s_add_i32 s27, s27, s4
	s_lshl_b64 s[28:29], s[6:7], 2
	s_lshl_b64 s[26:27], s[26:27], 2
	v_lshlrev_b32_e32 v1, 2, v0
	s_add_u32 s4, s26, s28
	s_addc_u32 s28, s27, s29
	s_lshl_b64 s[26:27], s[24:25], 2
	s_delay_alu instid0(SALU_CYCLE_1)
	s_add_u32 s4, s4, s26
	s_addc_u32 s28, s28, s27
	s_lshl_b64 s[26:27], s[22:23], 2
	v_sub_nc_u32_e32 v2, s5, v1
	s_add_u32 s4, s4, s26
	s_addc_u32 s26, s28, s27
	s_add_u32 s4, s20, s4
	s_addc_u32 s28, s21, s26
	v_add_co_u32 v1, s4, s4, v1
	v_add_nc_u32_e32 v3, -4, v2
	s_lshl_b64 s[26:27], s[12:13], 2
	v_add_co_ci_u32_e64 v2, null, s28, 0, s4
	s_sub_u32 s13, 0, s26
	s_subb_u32 s27, 0, s27
	s_mov_b32 s26, 0
	s_mov_b32 s28, s18
.LBB3_4:                                ; =>This Inner Loop Header: Depth=1
	global_load_b32 v4, v[1:2], off
	s_add_i32 s28, s28, -1
	v_add_co_u32 v1, vcc_lo, v1, s13
	v_cmp_le_i32_e64 s4, s28, v0
	v_add_co_ci_u32_e32 v2, vcc_lo, s27, v2, vcc_lo
	s_delay_alu instid0(VALU_DEP_2)
	s_or_b32 s26, s4, s26
	s_waitcnt vmcnt(0)
	ds_store_b32 v3, v4
	v_add_nc_u32_e32 v3, s5, v3
	s_and_not1_b32 exec_lo, exec_lo, s26
	s_cbranch_execnz .LBB3_4
; %bb.5:
	s_or_b32 exec_lo, exec_lo, s26
	s_mov_b32 s4, 0
.LBB3_6:
	s_delay_alu instid0(SALU_CYCLE_1)
	s_and_b32 vcc_lo, exec_lo, s4
	s_cbranch_vccz .LBB3_14
; %bb.7:
	v_dual_mov_b32 v3, 0 :: v_dual_add_nc_u32 v4, 1, v0
	s_ashr_i32 s13, s12, 31
	s_mov_b32 s5, exec_lo
	v_cmpx_lt_u32_e32 2, v0
	s_cbranch_execz .LBB3_11
; %bb.8:
	s_lshl_b64 s[26:27], s[24:25], 2
	v_lshlrev_b32_e32 v5, 2, v0
	s_add_u32 s4, s20, s26
	s_addc_u32 s28, s21, s27
	s_lshl_b64 s[26:27], s[22:23], 2
	v_and_b32_e32 v3, 0x7fc, v4
	s_add_u32 s4, s4, s26
	s_addc_u32 s28, s28, s27
	s_lshl_b64 s[26:27], s[6:7], 2
	s_mul_hi_i32 s33, s12, 12
	s_add_u32 s4, s4, s26
	s_addc_u32 s26, s28, s27
	v_add_co_u32 v1, s4, s4, v5
	s_delay_alu instid0(VALU_DEP_1)
	v_add_co_ci_u32_e64 v2, null, s26, 0, s4
	s_mul_i32 s34, s12, 12
	s_lshl_b64 s[26:27], s[12:13], 4
	s_lshl_b64 s[28:29], s[12:13], 3
	;; [unrolled: 1-line block ×3, first 2 shown]
	s_lshl_b32 s35, s18, 2
	s_lshl_b32 s36, s18, 4
	;; [unrolled: 1-line block ×3, first 2 shown]
	s_mul_i32 s39, s18, 12
	s_mov_b32 s38, 0
	s_mov_b32 s40, 0
	s_set_inst_prefetch_distance 0x1
	.p2align	6
.LBB3_9:                                ; =>This Inner Loop Header: Depth=1
	v_add_co_u32 v6, vcc_lo, v1, s30
	v_add_co_ci_u32_e32 v7, vcc_lo, s31, v2, vcc_lo
	v_add_co_u32 v8, vcc_lo, v1, s28
	v_add_co_ci_u32_e32 v9, vcc_lo, s29, v2, vcc_lo
	;; [unrolled: 2-line block ×3, first 2 shown]
	s_clause 0x3
	global_load_b32 v12, v[1:2], off
	global_load_b32 v6, v[6:7], off
	;; [unrolled: 1-line block ×4, first 2 shown]
	s_add_i32 s40, s40, 4
	v_add_co_u32 v1, s4, v1, s26
	v_cmp_eq_u32_e32 vcc_lo, s40, v3
	v_add_nc_u32_e32 v9, s35, v5
	v_add_nc_u32_e32 v10, s37, v5
	;; [unrolled: 1-line block ×3, first 2 shown]
	v_add_co_ci_u32_e64 v2, s4, s27, v2, s4
	s_or_b32 s38, vcc_lo, s38
	s_waitcnt vmcnt(3)
	ds_store_b32 v5, v12
	v_add_nc_u32_e32 v5, s36, v5
	s_waitcnt vmcnt(2)
	ds_store_b32 v9, v6
	s_waitcnt vmcnt(1)
	ds_store_b32 v10, v7
	;; [unrolled: 2-line block ×3, first 2 shown]
	s_and_not1_b32 exec_lo, exec_lo, s38
	s_cbranch_execnz .LBB3_9
; %bb.10:
	s_set_inst_prefetch_distance 0x2
	s_or_b32 exec_lo, exec_lo, s38
.LBB3_11:
	s_delay_alu instid0(SALU_CYCLE_1) | instskip(SKIP_2) | instid1(VALU_DEP_1)
	s_or_b32 exec_lo, exec_lo, s5
	v_and_b32_e32 v4, 3, v4
	s_mov_b32 s5, 0
	v_cmp_ne_u32_e32 vcc_lo, 0, v4
	s_and_b32 exec_lo, exec_lo, vcc_lo
	s_cbranch_execz .LBB3_14
; %bb.12:
	v_mad_i64_i32 v[1:2], null, s12, v3, 0
	s_lshl_b64 s[6:7], s[6:7], 2
	s_lshl_b64 s[26:27], s[24:25], 2
	s_lshl_b32 s24, s18, 2
	s_add_u32 s4, s6, s26
	s_addc_u32 s25, s7, s27
	s_lshl_b64 s[6:7], s[22:23], 2
	s_delay_alu instid0(VALU_DEP_1) | instskip(SKIP_4) | instid1(VALU_DEP_3)
	v_lshlrev_b64 v[1:2], 2, v[1:2]
	s_add_u32 s4, s6, s4
	v_lshlrev_b32_e32 v5, 2, v0
	s_addc_u32 s6, s7, s25
	v_mul_lo_u32 v3, v3, s18
	v_add_co_u32 v1, vcc_lo, s4, v1
	v_add_co_ci_u32_e32 v2, vcc_lo, s6, v2, vcc_lo
	s_lshl_b64 s[6:7], s[12:13], 2
	s_delay_alu instid0(VALU_DEP_2) | instskip(NEXT) | instid1(VALU_DEP_2)
	v_add_co_u32 v1, vcc_lo, v1, v5
	v_add_co_ci_u32_e32 v2, vcc_lo, 0, v2, vcc_lo
	v_add_lshl_u32 v3, v0, v3, 2
	s_delay_alu instid0(VALU_DEP_3) | instskip(NEXT) | instid1(VALU_DEP_3)
	v_add_co_u32 v1, vcc_lo, s20, v1
	v_add_co_ci_u32_e32 v2, vcc_lo, s21, v2, vcc_lo
.LBB3_13:                               ; =>This Inner Loop Header: Depth=1
	global_load_b32 v5, v[1:2], off
	v_add_nc_u32_e32 v4, -1, v4
	v_add_co_u32 v1, vcc_lo, v1, s6
	v_add_co_ci_u32_e32 v2, vcc_lo, s7, v2, vcc_lo
	s_delay_alu instid0(VALU_DEP_3) | instskip(NEXT) | instid1(VALU_DEP_1)
	v_cmp_eq_u32_e64 s4, 0, v4
	s_or_b32 s5, s4, s5
	s_waitcnt vmcnt(0)
	ds_store_b32 v3, v5
	v_add_nc_u32_e32 v3, s24, v3
	s_and_not1_b32 exec_lo, exec_lo, s5
	s_cbranch_execnz .LBB3_13
.LBB3_14:
	s_or_b32 exec_lo, exec_lo, s19
	s_waitcnt lgkmcnt(0)
	s_barrier
	buffer_gl0_inv
                                        ; implicit-def: $vgpr1
	s_and_saveexec_b32 s4, s3
	s_delay_alu instid0(SALU_CYCLE_1)
	s_xor_b32 s3, exec_lo, s4
; %bb.15:
	v_mad_u64_u32 v[1:2], null, v0, s18, v[0:1]
; %bb.16:
	s_and_not1_saveexec_b32 s3, s3
	s_cbranch_execz .LBB3_22
; %bb.17:
	s_delay_alu instid0(VALU_DEP_1) | instskip(SKIP_2) | instid1(VALU_DEP_2)
	v_mad_u64_u32 v[1:2], null, v0, s18, v[0:1]
	v_mov_b32_e32 v4, 1.0
	s_cmpk_eq_i32 s17, 0x84
	v_lshlrev_b32_e32 v2, 2, v1
	s_cbranch_scc1 .LBB3_21
; %bb.18:
	ds_load_b32 v3, v2
	v_mov_b32_e32 v4, 1.0
	s_mov_b32 s4, exec_lo
	s_waitcnt lgkmcnt(0)
	v_cmpx_neq_f32_e32 0, v3
; %bb.19:
	v_div_scale_f32 v4, null, v3, v3, 1.0
	s_delay_alu instid0(VALU_DEP_1) | instskip(SKIP_2) | instid1(VALU_DEP_1)
	v_rcp_f32_e32 v5, v4
	s_waitcnt_depctr 0xfff
	v_fma_f32 v6, -v4, v5, 1.0
	v_fmac_f32_e32 v5, v6, v5
	v_div_scale_f32 v6, vcc_lo, 1.0, v3, 1.0
	s_delay_alu instid0(VALU_DEP_1) | instskip(NEXT) | instid1(VALU_DEP_1)
	v_mul_f32_e32 v7, v6, v5
	v_fma_f32 v8, -v4, v7, v6
	s_delay_alu instid0(VALU_DEP_1) | instskip(NEXT) | instid1(VALU_DEP_1)
	v_fmac_f32_e32 v7, v8, v5
	v_fma_f32 v4, -v4, v7, v6
	s_delay_alu instid0(VALU_DEP_1) | instskip(NEXT) | instid1(VALU_DEP_1)
	v_div_fmas_f32 v4, v4, v5, v7
	v_div_fixup_f32 v4, v4, v3, 1.0
; %bb.20:
	s_or_b32 exec_lo, exec_lo, s4
.LBB3_21:
	ds_store_b32 v2, v4
.LBB3_22:
	s_or_b32 exec_lo, exec_lo, s3
	s_delay_alu instid0(VALU_DEP_1)
	v_lshlrev_b32_e32 v1, 2, v1
	v_add_lshl_u32 v2, v0, s18, 2
	s_lshl_b32 s19, s18, 2
	s_mov_b32 s3, 4
	s_add_i32 s4, s19, 4
	s_mov_b32 s5, 0
	s_waitcnt lgkmcnt(0)
	s_barrier
	buffer_gl0_inv
	s_branch .LBB3_24
.LBB3_23:                               ;   in Loop: Header=BB3_24 Depth=1
	s_set_inst_prefetch_distance 0x2
	v_add_nc_u32_e32 v2, s19, v2
	s_add_i32 s3, s3, s4
	s_cmp_eq_u32 s5, s18
	s_barrier
	buffer_gl0_inv
	s_cbranch_scc1 .LBB3_33
.LBB3_24:                               ; =>This Loop Header: Depth=1
                                        ;     Child Loop BB3_29 Depth 2
	s_mul_i32 s7, s5, s18
	v_mov_b32_e32 v4, 0
	v_add_lshl_u32 v3, s7, v0, 2
	s_mov_b32 s6, exec_lo
	v_cmpx_lt_u32_e64 s5, v0
	s_cbranch_execz .LBB3_26
; %bb.25:                               ;   in Loop: Header=BB3_24 Depth=1
	s_add_i32 s7, s7, s5
	s_delay_alu instid0(SALU_CYCLE_1) | instskip(NEXT) | instid1(SALU_CYCLE_1)
	s_lshl_b32 s7, s7, 2
	v_mov_b32_e32 v4, s7
	ds_load_b32 v5, v3
	ds_load_b32 v4, v4
	s_waitcnt lgkmcnt(0)
	v_fma_f32 v4, v5, v4, 0
.LBB3_26:                               ;   in Loop: Header=BB3_24 Depth=1
	s_or_b32 exec_lo, exec_lo, s6
	s_add_i32 s5, s5, 1
	s_delay_alu instid0(SALU_CYCLE_1)
	s_cmp_ge_i32 s5, s18
	s_barrier
	buffer_gl0_inv
	s_cbranch_scc1 .LBB3_23
; %bb.27:                               ;   in Loop: Header=BB3_24 Depth=1
	v_mov_b32_e32 v5, v2
	s_mov_b32 s6, s3
	s_mov_b32 s7, s5
	s_set_inst_prefetch_distance 0x1
	s_branch .LBB3_29
	.p2align	6
.LBB3_28:                               ;   in Loop: Header=BB3_29 Depth=2
	s_or_b32 exec_lo, exec_lo, s12
	v_add_nc_u32_e32 v5, s19, v5
	s_add_i32 s7, s7, 1
	s_add_i32 s6, s6, 4
	s_cmp_ge_i32 s7, s18
	s_barrier
	buffer_gl0_inv
	s_cbranch_scc1 .LBB3_23
.LBB3_29:                               ;   Parent Loop BB3_24 Depth=1
                                        ; =>  This Inner Loop Header: Depth=2
	s_mov_b32 s12, exec_lo
	v_cmpx_eq_u32_e64 s7, v0
	s_cbranch_execz .LBB3_31
; %bb.30:                               ;   in Loop: Header=BB3_29 Depth=2
	ds_load_b32 v6, v1
	s_waitcnt lgkmcnt(0)
	v_mul_f32_e64 v6, -v4, v6
	ds_store_b32 v3, v6
.LBB3_31:                               ;   in Loop: Header=BB3_29 Depth=2
	s_or_b32 exec_lo, exec_lo, s12
	s_delay_alu instid0(SALU_CYCLE_1)
	s_mov_b32 s12, exec_lo
	s_waitcnt lgkmcnt(0)
	s_barrier
	buffer_gl0_inv
	v_cmpx_lt_u32_e64 s7, v0
	s_cbranch_execz .LBB3_28
; %bb.32:                               ;   in Loop: Header=BB3_29 Depth=2
	v_mov_b32_e32 v6, s6
	ds_load_b32 v7, v5
	ds_load_b32 v6, v6
	s_waitcnt lgkmcnt(0)
	v_fmac_f32_e32 v4, v7, v6
	s_branch .LBB3_28
.LBB3_33:
	s_and_saveexec_b32 s3, s2
	s_cbranch_execz .LBB3_46
; %bb.34:
	s_clause 0x1
	s_load_b128 s[4:7], s[0:1], 0x50
	s_load_b32 s2, s[0:1], 0x48
	v_lshlrev_b32_e32 v3, 2, v0
	s_waitcnt lgkmcnt(0)
	s_mul_i32 s0, s15, s5
	s_mul_hi_u32 s1, s15, s4
	s_mul_i32 s3, s14, s7
	s_mul_hi_u32 s7, s14, s6
	s_add_i32 s5, s1, s0
	s_add_i32 s7, s7, s3
	s_mul_i32 s4, s15, s4
	s_mul_i32 s6, s14, s6
	s_cmpk_lg_i32 s16, 0x7a
	s_mov_b32 s0, -1
	s_cbranch_scc0 .LBB3_38
; %bb.35:
	s_add_i32 s14, s18, -1
	s_lshl_b64 s[0:1], s[6:7], 2
	s_lshl_b64 s[12:13], s[4:5], 2
	s_ashr_i32 s3, s2, 31
	s_add_u32 s12, s0, s12
	s_mul_i32 s0, s3, s14
	s_mul_hi_u32 s15, s2, s14
	s_addc_u32 s13, s1, s13
	s_add_i32 s1, s15, s0
	s_mul_i32 s0, s2, s14
	v_lshlrev_b32_e32 v1, 2, v0
	s_lshl_b64 s[0:1], s[0:1], 2
	s_delay_alu instid0(SALU_CYCLE_1)
	s_add_u32 s12, s12, s0
	s_addc_u32 s13, s13, s1
	s_lshl_b64 s[0:1], s[10:11], 2
	v_sub_nc_u32_e32 v4, s19, v1
	s_add_u32 s0, s12, s0
	s_addc_u32 s1, s13, s1
	s_add_u32 s0, s8, s0
	s_addc_u32 s1, s9, s1
	v_add_co_u32 v1, s0, s0, v1
	s_lshl_b64 s[12:13], s[2:3], 2
	v_add_co_ci_u32_e64 v2, null, s1, 0, s0
	v_add_nc_u32_e32 v4, -4, v4
	s_sub_u32 s1, 0, s12
	s_subb_u32 s12, 0, s13
	s_mov_b32 s3, 0
	s_mov_b32 s13, s18
.LBB3_36:                               ; =>This Inner Loop Header: Depth=1
	ds_load_b32 v5, v4
	s_add_i32 s13, s13, -1
	v_add_nc_u32_e32 v4, s19, v4
	v_cmp_le_i32_e32 vcc_lo, s13, v0
	s_or_b32 s3, vcc_lo, s3
	s_waitcnt lgkmcnt(0)
	global_store_b32 v[1:2], v5, off
	v_add_co_u32 v1, s0, v1, s1
	s_delay_alu instid0(VALU_DEP_1)
	v_add_co_ci_u32_e64 v2, s0, s12, v2, s0
	s_and_not1_b32 exec_lo, exec_lo, s3
	s_cbranch_execnz .LBB3_36
; %bb.37:
	s_or_b32 exec_lo, exec_lo, s3
	s_mov_b32 s0, 0
.LBB3_38:
	s_delay_alu instid0(SALU_CYCLE_1)
	s_and_b32 vcc_lo, exec_lo, s0
	s_cbranch_vccz .LBB3_46
; %bb.39:
	v_dual_mov_b32 v4, 0 :: v_dual_add_nc_u32 v5, 1, v0
	s_ashr_i32 s3, s2, 31
	s_mov_b32 s1, exec_lo
	v_cmpx_lt_u32_e32 2, v0
	s_cbranch_execz .LBB3_43
; %bb.40:
	s_lshl_b64 s[12:13], s[4:5], 2
	v_and_b32_e32 v4, 0x7fc, v5
	s_add_u32 s0, s8, s12
	s_addc_u32 s14, s9, s13
	s_lshl_b64 s[12:13], s[10:11], 2
	v_mov_b32_e32 v6, v3
	s_add_u32 s0, s0, s12
	s_addc_u32 s14, s14, s13
	s_lshl_b64 s[12:13], s[6:7], 2
	s_mul_hi_i32 s20, s2, 12
	s_add_u32 s0, s0, s12
	s_addc_u32 s12, s14, s13
	v_add_co_u32 v1, s0, s0, v3
	s_delay_alu instid0(VALU_DEP_1)
	v_add_co_ci_u32_e64 v2, null, s12, 0, s0
	s_mul_i32 s21, s2, 12
	s_lshl_b64 s[12:13], s[2:3], 4
	s_lshl_b64 s[14:15], s[2:3], 3
	;; [unrolled: 1-line block ×3, first 2 shown]
	s_lshl_b32 s22, s18, 4
	s_lshl_b32 s23, s18, 3
	s_mul_i32 s25, s18, 12
	s_mov_b32 s24, 0
	s_mov_b32 s26, 0
	s_set_inst_prefetch_distance 0x1
	.p2align	6
.LBB3_41:                               ; =>This Inner Loop Header: Depth=1
	ds_load_b32 v13, v6
	v_add_nc_u32_e32 v9, s19, v6
	v_add_nc_u32_e32 v10, s23, v6
	;; [unrolled: 1-line block ×3, first 2 shown]
	v_add_co_u32 v7, vcc_lo, v1, s16
	ds_load_b32 v14, v9
	ds_load_b32 v15, v10
	;; [unrolled: 1-line block ×3, first 2 shown]
	v_add_co_ci_u32_e32 v8, vcc_lo, s17, v2, vcc_lo
	v_add_co_u32 v9, vcc_lo, v1, s14
	v_add_co_ci_u32_e32 v10, vcc_lo, s15, v2, vcc_lo
	v_add_co_u32 v11, vcc_lo, v1, s21
	s_add_i32 s26, s26, 4
	v_add_co_ci_u32_e32 v12, vcc_lo, s20, v2, vcc_lo
	v_cmp_eq_u32_e32 vcc_lo, s26, v4
	v_add_nc_u32_e32 v6, s22, v6
	s_waitcnt lgkmcnt(3)
	global_store_b32 v[1:2], v13, off
	v_add_co_u32 v1, s0, v1, s12
	s_delay_alu instid0(VALU_DEP_1)
	v_add_co_ci_u32_e64 v2, s0, s13, v2, s0
	s_or_b32 s24, vcc_lo, s24
	s_waitcnt lgkmcnt(2)
	global_store_b32 v[7:8], v14, off
	s_waitcnt lgkmcnt(1)
	global_store_b32 v[9:10], v15, off
	;; [unrolled: 2-line block ×3, first 2 shown]
	s_and_not1_b32 exec_lo, exec_lo, s24
	s_cbranch_execnz .LBB3_41
; %bb.42:
	s_set_inst_prefetch_distance 0x2
	s_or_b32 exec_lo, exec_lo, s24
.LBB3_43:
	s_delay_alu instid0(SALU_CYCLE_1) | instskip(SKIP_2) | instid1(VALU_DEP_1)
	s_or_b32 exec_lo, exec_lo, s1
	v_and_b32_e32 v5, 3, v5
	s_mov_b32 s1, 0
	v_cmp_ne_u32_e32 vcc_lo, 0, v5
	s_and_b32 exec_lo, exec_lo, vcc_lo
	s_cbranch_execz .LBB3_46
; %bb.44:
	v_mad_i64_i32 v[1:2], null, s2, v4, 0
	s_lshl_b64 s[6:7], s[6:7], 2
	s_lshl_b64 s[4:5], s[4:5], 2
	v_mul_lo_u32 v4, v4, s18
	s_add_u32 s0, s6, s4
	s_addc_u32 s6, s7, s5
	s_lshl_b64 s[4:5], s[10:11], 2
	s_delay_alu instid0(VALU_DEP_2) | instskip(SKIP_4) | instid1(VALU_DEP_2)
	v_lshlrev_b64 v[1:2], 2, v[1:2]
	s_add_u32 s0, s4, s0
	s_addc_u32 s4, s5, s6
	s_lshl_b64 s[2:3], s[2:3], 2
	v_add_lshl_u32 v0, v0, v4, 2
	v_add_co_u32 v1, vcc_lo, s0, v1
	v_add_co_ci_u32_e32 v2, vcc_lo, s4, v2, vcc_lo
	s_delay_alu instid0(VALU_DEP_2) | instskip(NEXT) | instid1(VALU_DEP_2)
	v_add_co_u32 v1, vcc_lo, v1, v3
	v_add_co_ci_u32_e32 v2, vcc_lo, 0, v2, vcc_lo
	s_delay_alu instid0(VALU_DEP_2) | instskip(NEXT) | instid1(VALU_DEP_2)
	v_add_co_u32 v1, vcc_lo, s8, v1
	v_add_co_ci_u32_e32 v2, vcc_lo, s9, v2, vcc_lo
.LBB3_45:                               ; =>This Inner Loop Header: Depth=1
	ds_load_b32 v3, v0
	v_add_nc_u32_e32 v5, -1, v5
	v_add_nc_u32_e32 v0, s19, v0
	s_delay_alu instid0(VALU_DEP_2) | instskip(SKIP_4) | instid1(VALU_DEP_1)
	v_cmp_eq_u32_e32 vcc_lo, 0, v5
	s_or_b32 s1, vcc_lo, s1
	s_waitcnt lgkmcnt(0)
	global_store_b32 v[1:2], v3, off
	v_add_co_u32 v1, s0, v1, s2
	v_add_co_ci_u32_e64 v2, s0, s3, v2, s0
	s_and_not1_b32 exec_lo, exec_lo, s1
	s_cbranch_execnz .LBB3_45
.LBB3_46:
	s_nop 0
	s_sendmsg sendmsg(MSG_DEALLOC_VGPRS)
	s_endpgm
	.section	.rodata,"a",@progbits
	.p2align	6, 0x0
	.amdhsa_kernel _ZL30rocblas_trtri_remainder_kernelILi16EfPKfPfEv13rocblas_fill_17rocblas_diagonal_iT1_lillT2_lilli
		.amdhsa_group_segment_fixed_size 4096
		.amdhsa_private_segment_fixed_size 0
		.amdhsa_kernarg_size 100
		.amdhsa_user_sgpr_count 14
		.amdhsa_user_sgpr_dispatch_ptr 0
		.amdhsa_user_sgpr_queue_ptr 0
		.amdhsa_user_sgpr_kernarg_segment_ptr 1
		.amdhsa_user_sgpr_dispatch_id 0
		.amdhsa_user_sgpr_private_segment_size 0
		.amdhsa_wavefront_size32 1
		.amdhsa_uses_dynamic_stack 0
		.amdhsa_enable_private_segment 0
		.amdhsa_system_sgpr_workgroup_id_x 1
		.amdhsa_system_sgpr_workgroup_id_y 0
		.amdhsa_system_sgpr_workgroup_id_z 1
		.amdhsa_system_sgpr_workgroup_info 0
		.amdhsa_system_vgpr_workitem_id 0
		.amdhsa_next_free_vgpr 17
		.amdhsa_next_free_sgpr 41
		.amdhsa_reserve_vcc 1
		.amdhsa_float_round_mode_32 0
		.amdhsa_float_round_mode_16_64 0
		.amdhsa_float_denorm_mode_32 3
		.amdhsa_float_denorm_mode_16_64 3
		.amdhsa_dx10_clamp 1
		.amdhsa_ieee_mode 1
		.amdhsa_fp16_overflow 0
		.amdhsa_workgroup_processor_mode 1
		.amdhsa_memory_ordered 1
		.amdhsa_forward_progress 0
		.amdhsa_shared_vgpr_count 0
		.amdhsa_exception_fp_ieee_invalid_op 0
		.amdhsa_exception_fp_denorm_src 0
		.amdhsa_exception_fp_ieee_div_zero 0
		.amdhsa_exception_fp_ieee_overflow 0
		.amdhsa_exception_fp_ieee_underflow 0
		.amdhsa_exception_fp_ieee_inexact 0
		.amdhsa_exception_int_div_zero 0
	.end_amdhsa_kernel
	.section	.text._ZL30rocblas_trtri_remainder_kernelILi16EfPKfPfEv13rocblas_fill_17rocblas_diagonal_iT1_lillT2_lilli,"axG",@progbits,_ZL30rocblas_trtri_remainder_kernelILi16EfPKfPfEv13rocblas_fill_17rocblas_diagonal_iT1_lillT2_lilli,comdat
.Lfunc_end3:
	.size	_ZL30rocblas_trtri_remainder_kernelILi16EfPKfPfEv13rocblas_fill_17rocblas_diagonal_iT1_lillT2_lilli, .Lfunc_end3-_ZL30rocblas_trtri_remainder_kernelILi16EfPKfPfEv13rocblas_fill_17rocblas_diagonal_iT1_lillT2_lilli
                                        ; -- End function
	.section	.AMDGPU.csdata,"",@progbits
; Kernel info:
; codeLenInByte = 2276
; NumSgprs: 43
; NumVgprs: 17
; ScratchSize: 0
; MemoryBound: 0
; FloatMode: 240
; IeeeMode: 1
; LDSByteSize: 4096 bytes/workgroup (compile time only)
; SGPRBlocks: 5
; VGPRBlocks: 2
; NumSGPRsForWavesPerEU: 43
; NumVGPRsForWavesPerEU: 17
; Occupancy: 16
; WaveLimiterHint : 0
; COMPUTE_PGM_RSRC2:SCRATCH_EN: 0
; COMPUTE_PGM_RSRC2:USER_SGPR: 14
; COMPUTE_PGM_RSRC2:TRAP_HANDLER: 0
; COMPUTE_PGM_RSRC2:TGID_X_EN: 1
; COMPUTE_PGM_RSRC2:TGID_Y_EN: 0
; COMPUTE_PGM_RSRC2:TGID_Z_EN: 1
; COMPUTE_PGM_RSRC2:TIDIG_COMP_CNT: 0
	.section	.text._ZL18rocblas_trtri_fillILi128EdPdEvP15_rocblas_handle13rocblas_fill_ililT1_llii,"axG",@progbits,_ZL18rocblas_trtri_fillILi128EdPdEvP15_rocblas_handle13rocblas_fill_ililT1_llii,comdat
	.globl	_ZL18rocblas_trtri_fillILi128EdPdEvP15_rocblas_handle13rocblas_fill_ililT1_llii ; -- Begin function _ZL18rocblas_trtri_fillILi128EdPdEvP15_rocblas_handle13rocblas_fill_ililT1_llii
	.p2align	8
	.type	_ZL18rocblas_trtri_fillILi128EdPdEvP15_rocblas_handle13rocblas_fill_ililT1_llii,@function
_ZL18rocblas_trtri_fillILi128EdPdEvP15_rocblas_handle13rocblas_fill_ililT1_llii: ; @_ZL18rocblas_trtri_fillILi128EdPdEvP15_rocblas_handle13rocblas_fill_ililT1_llii
; %bb.0:
	s_clause 0x1
	s_load_b64 s[12:13], s[0:1], 0x10
	s_load_b32 s3, s[0:1], 0x40
	s_mov_b32 s2, s15
	s_mov_b32 s15, 0
	s_delay_alu instid0(SALU_CYCLE_1) | instskip(NEXT) | instid1(SALU_CYCLE_1)
	s_lshl_b64 s[4:5], s[14:15], 7
	v_mov_b32_e32 v1, s5
	v_or_b32_e32 v0, s4, v0
	s_waitcnt lgkmcnt(0)
	s_mul_i32 s4, s3, s13
	s_mul_hi_u32 s5, s3, s12
	s_ashr_i32 s6, s3, 31
	s_add_i32 s4, s5, s4
	s_mul_i32 s6, s6, s12
	s_mul_i32 s16, s3, s12
	s_add_i32 s17, s4, s6
	s_mov_b32 s3, exec_lo
	v_cmpx_gt_u64_e64 s[16:17], v[0:1]
	s_cbranch_execz .LBB4_16
; %bb.1:
	s_clause 0x2
	s_load_b256 s[4:11], s[0:1], 0x20
	s_load_b32 s18, s[0:1], 0x18
	s_load_b64 s[20:21], s[0:1], 0x8
	v_cvt_f32_u32_e32 v4, s12
	v_cvt_f32_u32_e32 v2, s12
	;; [unrolled: 1-line block ×3, first 2 shown]
	s_clause 0x1
	s_load_b32 s14, s[0:1], 0x48
	s_load_b32 s0, s[0:1], 0x54
	v_rcp_iflag_f32_e32 v4, v4
	v_fmamk_f32 v5, v3, 0x4f800000, v2
	s_delay_alu instid0(VALU_DEP_1)
	v_rcp_f32_e32 v5, v5
	s_waitcnt_depctr 0xfff
	v_mul_f32_e32 v4, 0x4f7ffffe, v4
	s_waitcnt lgkmcnt(0)
	s_mul_i32 s3, s2, s11
	s_mul_hi_u32 s11, s2, s10
	s_mul_i32 s2, s2, s10
	s_add_i32 s3, s11, s3
	s_ashr_i32 s19, s18, 31
	s_lshl_b64 s[2:3], s[2:3], 3
	v_cvt_u32_f32_e32 v6, v4
	s_add_u32 s6, s6, s2
	s_addc_u32 s7, s7, s3
	s_lshl_b64 s[2:3], s[8:9], 3
	v_mul_f32_e32 v5, 0x5f7ffffc, v5
	s_add_u32 s6, s6, s2
	s_addc_u32 s7, s7, s3
	s_add_i32 s2, s21, -2
	s_ashr_i32 s8, s21, 31
	v_cvt_f64_i32_e32 v[2:3], s2
	s_add_i32 s2, s21, -1
	v_mul_f32_e32 v4, 0x2f800000, v5
	s_mul_hi_i32 s3, s2, s21
	s_mul_i32 s2, s2, s21
	s_delay_alu instid0(SALU_CYCLE_1) | instskip(NEXT) | instid1(VALU_DEP_1)
	s_lshl_b64 s[10:11], s[2:3], 2
	v_trunc_f32_e32 v8, v4
	s_add_u32 s1, s10, -7
	s_addc_u32 s9, s11, -1
	s_sub_i32 s10, 0, s12
	v_mov_b32_e32 v4, 0
	v_mul_lo_u32 v7, s10, v6
	v_fmamk_f32 v5, v8, 0xcf800000, v5
	v_cvt_u32_f32_e32 v12, v8
	s_and_b32 s0, s0, 0xffff
	s_mov_b32 s10, s21
	s_lshr_b64 s[2:3], s[2:3], 1
	v_cvt_u32_f32_e32 v11, v5
	s_mul_hi_u32 s11, s0, s14
	v_mul_hi_u32 v7, v6, v7
	s_mul_i32 s14, s0, s14
	s_delay_alu instid0(VALU_DEP_1)
	v_add_nc_u32_e32 v13, v6, v7
	s_branch .LBB4_3
.LBB4_2:                                ;   in Loop: Header=BB4_3 Depth=1
	v_add_co_u32 v0, vcc_lo, v0, s14
	v_add_co_ci_u32_e32 v1, vcc_lo, s11, v1, vcc_lo
	s_delay_alu instid0(VALU_DEP_1) | instskip(SKIP_1) | instid1(SALU_CYCLE_1)
	v_cmp_le_u64_e32 vcc_lo, s[16:17], v[0:1]
	s_or_b32 s15, vcc_lo, s15
	s_and_not1_b32 exec_lo, exec_lo, s15
	s_cbranch_execz .LBB4_16
.LBB4_3:                                ; =>This Inner Loop Header: Depth=1
	v_or_b32_e32 v5, s13, v1
	s_delay_alu instid0(VALU_DEP_1) | instskip(SKIP_1) | instid1(SALU_CYCLE_1)
	v_cmp_ne_u64_e32 vcc_lo, 0, v[4:5]
                                        ; implicit-def: $vgpr5_vgpr6
	s_and_saveexec_b32 s0, vcc_lo
	s_xor_b32 s21, exec_lo, s0
	s_cbranch_execz .LBB4_5
; %bb.4:                                ;   in Loop: Header=BB4_3 Depth=1
	s_sub_u32 s0, 0, s12
	s_subb_u32 s22, 0, s13
	v_mul_hi_u32 v5, s0, v11
	v_mul_lo_u32 v6, s0, v12
	v_mul_lo_u32 v7, s22, v11
	s_delay_alu instid0(VALU_DEP_2) | instskip(SKIP_1) | instid1(VALU_DEP_2)
	v_add_nc_u32_e32 v5, v5, v6
	v_mul_lo_u32 v6, s0, v11
	v_add_nc_u32_e32 v5, v5, v7
	s_delay_alu instid0(VALU_DEP_2) | instskip(NEXT) | instid1(VALU_DEP_2)
	v_mul_hi_u32 v7, v11, v6
	v_mul_lo_u32 v8, v11, v5
	v_mul_hi_u32 v9, v11, v5
	v_mul_hi_u32 v10, v12, v6
	v_mul_lo_u32 v6, v12, v6
	v_mul_hi_u32 v14, v12, v5
	v_mul_lo_u32 v5, v12, v5
	v_add_co_u32 v7, vcc_lo, v7, v8
	v_add_co_ci_u32_e32 v8, vcc_lo, 0, v9, vcc_lo
	s_delay_alu instid0(VALU_DEP_2) | instskip(NEXT) | instid1(VALU_DEP_2)
	v_add_co_u32 v6, vcc_lo, v7, v6
	v_add_co_ci_u32_e32 v6, vcc_lo, v8, v10, vcc_lo
	v_add_co_ci_u32_e32 v7, vcc_lo, 0, v14, vcc_lo
	s_delay_alu instid0(VALU_DEP_2) | instskip(NEXT) | instid1(VALU_DEP_2)
	v_add_co_u32 v5, vcc_lo, v6, v5
	v_add_co_ci_u32_e32 v6, vcc_lo, 0, v7, vcc_lo
	s_delay_alu instid0(VALU_DEP_2) | instskip(NEXT) | instid1(VALU_DEP_2)
	v_add_co_u32 v5, vcc_lo, v11, v5
	v_add_co_ci_u32_e32 v6, vcc_lo, v12, v6, vcc_lo
	s_delay_alu instid0(VALU_DEP_2) | instskip(SKIP_1) | instid1(VALU_DEP_3)
	v_mul_hi_u32 v7, s0, v5
	v_mul_lo_u32 v9, s22, v5
	v_mul_lo_u32 v8, s0, v6
	s_delay_alu instid0(VALU_DEP_1) | instskip(SKIP_1) | instid1(VALU_DEP_2)
	v_add_nc_u32_e32 v7, v7, v8
	v_mul_lo_u32 v8, s0, v5
	v_add_nc_u32_e32 v7, v7, v9
	s_delay_alu instid0(VALU_DEP_2) | instskip(NEXT) | instid1(VALU_DEP_2)
	v_mul_hi_u32 v9, v5, v8
	v_mul_lo_u32 v10, v5, v7
	v_mul_hi_u32 v14, v5, v7
	v_mul_hi_u32 v15, v6, v8
	v_mul_lo_u32 v8, v6, v8
	v_mul_hi_u32 v16, v6, v7
	v_mul_lo_u32 v7, v6, v7
	v_add_co_u32 v9, vcc_lo, v9, v10
	v_add_co_ci_u32_e32 v10, vcc_lo, 0, v14, vcc_lo
	s_delay_alu instid0(VALU_DEP_2) | instskip(NEXT) | instid1(VALU_DEP_2)
	v_add_co_u32 v8, vcc_lo, v9, v8
	v_add_co_ci_u32_e32 v8, vcc_lo, v10, v15, vcc_lo
	v_add_co_ci_u32_e32 v9, vcc_lo, 0, v16, vcc_lo
	s_delay_alu instid0(VALU_DEP_2) | instskip(NEXT) | instid1(VALU_DEP_2)
	v_add_co_u32 v7, vcc_lo, v8, v7
	v_add_co_ci_u32_e32 v8, vcc_lo, 0, v9, vcc_lo
	s_delay_alu instid0(VALU_DEP_2) | instskip(NEXT) | instid1(VALU_DEP_2)
	v_add_co_u32 v9, vcc_lo, v5, v7
	v_add_co_ci_u32_e32 v14, vcc_lo, v6, v8, vcc_lo
	s_delay_alu instid0(VALU_DEP_2) | instskip(SKIP_1) | instid1(VALU_DEP_3)
	v_mul_hi_u32 v15, v0, v9
	v_mad_u64_u32 v[7:8], null, v1, v9, 0
	v_mad_u64_u32 v[5:6], null, v0, v14, 0
	;; [unrolled: 1-line block ×3, first 2 shown]
	s_delay_alu instid0(VALU_DEP_2) | instskip(NEXT) | instid1(VALU_DEP_3)
	v_add_co_u32 v5, vcc_lo, v15, v5
	v_add_co_ci_u32_e32 v6, vcc_lo, 0, v6, vcc_lo
	s_delay_alu instid0(VALU_DEP_2) | instskip(NEXT) | instid1(VALU_DEP_2)
	v_add_co_u32 v5, vcc_lo, v5, v7
	v_add_co_ci_u32_e32 v5, vcc_lo, v6, v8, vcc_lo
	v_add_co_ci_u32_e32 v6, vcc_lo, 0, v10, vcc_lo
	s_delay_alu instid0(VALU_DEP_2) | instskip(NEXT) | instid1(VALU_DEP_2)
	v_add_co_u32 v7, vcc_lo, v5, v9
	v_add_co_ci_u32_e32 v8, vcc_lo, 0, v6, vcc_lo
	s_delay_alu instid0(VALU_DEP_2) | instskip(SKIP_1) | instid1(VALU_DEP_3)
	v_mul_lo_u32 v9, s13, v7
	v_mad_u64_u32 v[5:6], null, s12, v7, 0
	v_mul_lo_u32 v10, s12, v8
	s_delay_alu instid0(VALU_DEP_2) | instskip(NEXT) | instid1(VALU_DEP_2)
	v_sub_co_u32 v5, vcc_lo, v0, v5
	v_add3_u32 v6, v6, v10, v9
	s_delay_alu instid0(VALU_DEP_1) | instskip(NEXT) | instid1(VALU_DEP_1)
	v_sub_nc_u32_e32 v9, v1, v6
	v_subrev_co_ci_u32_e64 v9, s0, s13, v9, vcc_lo
	v_add_co_u32 v10, s0, v7, 2
	s_delay_alu instid0(VALU_DEP_1) | instskip(SKIP_3) | instid1(VALU_DEP_3)
	v_add_co_ci_u32_e64 v14, s0, 0, v8, s0
	v_sub_co_u32 v15, s0, v5, s12
	v_sub_co_ci_u32_e32 v6, vcc_lo, v1, v6, vcc_lo
	v_subrev_co_ci_u32_e64 v9, s0, 0, v9, s0
	v_cmp_le_u32_e32 vcc_lo, s12, v15
	s_delay_alu instid0(VALU_DEP_3) | instskip(SKIP_1) | instid1(VALU_DEP_4)
	v_cmp_eq_u32_e64 s0, s13, v6
	v_cndmask_b32_e64 v15, 0, -1, vcc_lo
	v_cmp_le_u32_e32 vcc_lo, s13, v9
	v_cndmask_b32_e64 v16, 0, -1, vcc_lo
	v_cmp_le_u32_e32 vcc_lo, s12, v5
	;; [unrolled: 2-line block ×3, first 2 shown]
	v_cndmask_b32_e64 v17, 0, -1, vcc_lo
	v_cmp_eq_u32_e32 vcc_lo, s13, v9
	s_delay_alu instid0(VALU_DEP_2) | instskip(SKIP_3) | instid1(VALU_DEP_3)
	v_cndmask_b32_e64 v5, v17, v5, s0
	v_cndmask_b32_e32 v9, v16, v15, vcc_lo
	v_add_co_u32 v15, vcc_lo, v7, 1
	v_add_co_ci_u32_e32 v16, vcc_lo, 0, v8, vcc_lo
	v_cmp_ne_u32_e32 vcc_lo, 0, v9
	s_delay_alu instid0(VALU_DEP_2) | instskip(NEXT) | instid1(VALU_DEP_4)
	v_cndmask_b32_e32 v6, v16, v14, vcc_lo
	v_cndmask_b32_e32 v9, v15, v10, vcc_lo
	v_cmp_ne_u32_e32 vcc_lo, 0, v5
	s_delay_alu instid0(VALU_DEP_2)
	v_dual_cndmask_b32 v6, v8, v6 :: v_dual_cndmask_b32 v5, v7, v9
.LBB4_5:                                ;   in Loop: Header=BB4_3 Depth=1
	s_and_not1_saveexec_b32 s0, s21
; %bb.6:                                ;   in Loop: Header=BB4_3 Depth=1
	v_mul_hi_u32 v5, v0, v13
	s_delay_alu instid0(VALU_DEP_1) | instskip(NEXT) | instid1(VALU_DEP_1)
	v_mul_lo_u32 v6, v5, s12
	v_sub_nc_u32_e32 v6, v0, v6
	s_delay_alu instid0(VALU_DEP_1) | instskip(SKIP_1) | instid1(VALU_DEP_2)
	v_subrev_nc_u32_e32 v8, s12, v6
	v_cmp_le_u32_e32 vcc_lo, s12, v6
	v_dual_cndmask_b32 v6, v6, v8 :: v_dual_add_nc_u32 v7, 1, v5
	s_delay_alu instid0(VALU_DEP_1) | instskip(NEXT) | instid1(VALU_DEP_2)
	v_cndmask_b32_e32 v5, v5, v7, vcc_lo
	v_cmp_le_u32_e32 vcc_lo, s12, v6
	s_delay_alu instid0(VALU_DEP_2) | instskip(NEXT) | instid1(VALU_DEP_1)
	v_dual_mov_b32 v6, v4 :: v_dual_add_nc_u32 v7, 1, v5
	v_cndmask_b32_e32 v5, v5, v7, vcc_lo
; %bb.7:                                ;   in Loop: Header=BB4_3 Depth=1
	s_or_b32 exec_lo, exec_lo, s0
	s_delay_alu instid0(VALU_DEP_2) | instskip(NEXT) | instid1(VALU_DEP_2)
	v_mul_lo_u32 v9, v6, s12
	v_mul_lo_u32 v10, v5, s13
	v_mad_u64_u32 v[7:8], null, v5, s12, 0
	s_cmpk_lt_i32 s20, 0x7a
	s_delay_alu instid0(VALU_DEP_1) | instskip(NEXT) | instid1(VALU_DEP_2)
	v_add3_u32 v8, v8, v10, v9
	v_sub_co_u32 v7, vcc_lo, v0, v7
	s_delay_alu instid0(VALU_DEP_2)
	v_sub_co_ci_u32_e32 v8, vcc_lo, v1, v8, vcc_lo
	s_cbranch_scc1 .LBB4_10
; %bb.8:                                ;   in Loop: Header=BB4_3 Depth=1
	s_mov_b32 s0, 0
	s_cmpk_eq_i32 s20, 0x7a
	s_mov_b32 s21, 0
                                        ; implicit-def: $vgpr9_vgpr10
	s_cbranch_scc0 .LBB4_11
; %bb.9:                                ;   in Loop: Header=BB4_3 Depth=1
	v_lshlrev_b64 v[9:10], 3, v[7:8]
	s_mov_b32 s21, -1
	s_delay_alu instid0(VALU_DEP_1) | instskip(NEXT) | instid1(VALU_DEP_2)
	v_sub_co_u32 v14, vcc_lo, s1, v9
	v_sub_co_ci_u32_e32 v9, vcc_lo, s9, v10, vcc_lo
	s_delay_alu instid0(VALU_DEP_2) | instskip(NEXT) | instid1(VALU_DEP_2)
	v_cvt_f64_u32_e32 v[14:15], v14
	v_cvt_f64_u32_e32 v[9:10], v9
	s_delay_alu instid0(VALU_DEP_1) | instskip(NEXT) | instid1(VALU_DEP_1)
	v_ldexp_f64 v[9:10], v[9:10], 32
	v_add_f64 v[9:10], v[9:10], v[14:15]
	s_delay_alu instid0(VALU_DEP_1) | instskip(SKIP_1) | instid1(VALU_DEP_1)
	v_cmp_gt_f64_e32 vcc_lo, 0x10000000, v[9:10]
	v_cndmask_b32_e64 v14, 0, 1, vcc_lo
	v_lshlrev_b32_e32 v14, 8, v14
	s_delay_alu instid0(VALU_DEP_1) | instskip(NEXT) | instid1(VALU_DEP_1)
	v_ldexp_f64 v[9:10], v[9:10], v14
	v_rsq_f64_e32 v[14:15], v[9:10]
	s_waitcnt_depctr 0xfff
	v_mul_f64 v[16:17], v[9:10], v[14:15]
	v_mul_f64 v[14:15], v[14:15], 0.5
	s_delay_alu instid0(VALU_DEP_1) | instskip(NEXT) | instid1(VALU_DEP_1)
	v_fma_f64 v[18:19], -v[14:15], v[16:17], 0.5
	v_fma_f64 v[16:17], v[16:17], v[18:19], v[16:17]
	v_fma_f64 v[14:15], v[14:15], v[18:19], v[14:15]
	s_delay_alu instid0(VALU_DEP_2) | instskip(NEXT) | instid1(VALU_DEP_1)
	v_fma_f64 v[18:19], -v[16:17], v[16:17], v[9:10]
	v_fma_f64 v[16:17], v[18:19], v[14:15], v[16:17]
	s_delay_alu instid0(VALU_DEP_1) | instskip(NEXT) | instid1(VALU_DEP_1)
	v_fma_f64 v[18:19], -v[16:17], v[16:17], v[9:10]
	v_fma_f64 v[14:15], v[18:19], v[14:15], v[16:17]
	v_cndmask_b32_e64 v16, 0, 0xffffff80, vcc_lo
	v_cmp_class_f64_e64 vcc_lo, v[9:10], 0x260
	v_mul_lo_u32 v17, v5, s5
	s_delay_alu instid0(VALU_DEP_3) | instskip(SKIP_1) | instid1(VALU_DEP_2)
	v_ldexp_f64 v[14:15], v[14:15], v16
	v_mul_lo_u32 v16, v6, s4
	v_dual_cndmask_b32 v10, v15, v10 :: v_dual_cndmask_b32 v9, v14, v9
	s_delay_alu instid0(VALU_DEP_1) | instskip(NEXT) | instid1(VALU_DEP_1)
	v_fma_f64 v[9:10], v[9:10], 0.5, -0.5
	v_floor_f64_e32 v[9:10], v[9:10]
	s_delay_alu instid0(VALU_DEP_1) | instskip(NEXT) | instid1(VALU_DEP_1)
	v_add_f64 v[9:10], v[2:3], -v[9:10]
	v_trunc_f64_e32 v[9:10], v[9:10]
	s_delay_alu instid0(VALU_DEP_1) | instskip(NEXT) | instid1(VALU_DEP_1)
	v_ldexp_f64 v[14:15], v[9:10], 0xffffffe0
	v_floor_f64_e32 v[14:15], v[14:15]
	s_delay_alu instid0(VALU_DEP_1) | instskip(SKIP_1) | instid1(VALU_DEP_2)
	v_fma_f64 v[9:10], 0xc1f00000, v[14:15], v[9:10]
	v_cvt_u32_f64_e32 v15, v[14:15]
	v_cvt_u32_f64_e32 v14, v[9:10]
	v_mad_u64_u32 v[9:10], null, v5, s4, 0
	s_delay_alu instid0(VALU_DEP_3) | instskip(NEXT) | instid1(VALU_DEP_2)
	v_mul_lo_u32 v20, v15, s18
	v_add3_u32 v10, v10, v17, v16
	s_delay_alu instid0(VALU_DEP_1) | instskip(SKIP_4) | instid1(VALU_DEP_4)
	v_lshlrev_b64 v[9:10], 3, v[9:10]
	v_sub_co_u32 v22, vcc_lo, s10, v14
	v_sub_co_ci_u32_e32 v21, vcc_lo, s8, v15, vcc_lo
	v_mul_lo_u32 v23, v14, s19
	v_mad_u64_u32 v[16:17], null, v14, s18, 0
	v_add_co_u32 v24, vcc_lo, v22, -1
	s_delay_alu instid0(VALU_DEP_4) | instskip(SKIP_1) | instid1(VALU_DEP_4)
	v_add_co_ci_u32_e32 v25, vcc_lo, -1, v21, vcc_lo
	v_sub_co_u32 v18, vcc_lo, v7, s2
	v_add3_u32 v17, v17, v23, v20
	s_delay_alu instid0(VALU_DEP_3)
	v_mul_lo_u32 v23, v25, v22
	v_mul_lo_u32 v25, v24, v21
	v_mad_u64_u32 v[20:21], null, v24, v22, 0
	v_subrev_co_ci_u32_e32 v19, vcc_lo, s3, v8, vcc_lo
	v_lshlrev_b64 v[16:17], 3, v[16:17]
	v_add_co_u32 v9, vcc_lo, s6, v9
	v_add_co_ci_u32_e32 v10, vcc_lo, s7, v10, vcc_lo
	s_delay_alu instid0(VALU_DEP_4) | instskip(SKIP_1) | instid1(VALU_DEP_4)
	v_lshlrev_b64 v[18:19], 3, v[18:19]
	v_add3_u32 v21, v21, v25, v23
	v_add_co_u32 v16, vcc_lo, v9, v16
	s_delay_alu instid0(VALU_DEP_4) | instskip(NEXT) | instid1(VALU_DEP_3)
	v_add_co_ci_u32_e32 v17, vcc_lo, v10, v17, vcc_lo
	v_lshlrev_b64 v[9:10], 2, v[20:21]
	v_lshlrev_b64 v[14:15], 3, v[14:15]
	s_delay_alu instid0(VALU_DEP_4) | instskip(NEXT) | instid1(VALU_DEP_4)
	v_add_co_u32 v16, vcc_lo, v16, v18
	v_add_co_ci_u32_e32 v17, vcc_lo, v17, v19, vcc_lo
	s_delay_alu instid0(VALU_DEP_4) | instskip(NEXT) | instid1(VALU_DEP_3)
	v_and_b32_e32 v9, -8, v9
	v_add_co_u32 v14, vcc_lo, v16, v14
	s_delay_alu instid0(VALU_DEP_3) | instskip(NEXT) | instid1(VALU_DEP_2)
	v_add_co_ci_u32_e32 v15, vcc_lo, v17, v15, vcc_lo
	v_add_co_u32 v9, vcc_lo, v14, v9
	s_delay_alu instid0(VALU_DEP_2) | instskip(NEXT) | instid1(VALU_DEP_2)
	v_add_co_ci_u32_e32 v10, vcc_lo, v15, v10, vcc_lo
	v_add_co_u32 v9, vcc_lo, v9, 8
	s_delay_alu instid0(VALU_DEP_2)
	v_add_co_ci_u32_e32 v10, vcc_lo, 0, v10, vcc_lo
	s_branch .LBB4_11
.LBB4_10:                               ;   in Loop: Header=BB4_3 Depth=1
	s_mov_b32 s0, -1
	s_mov_b32 s21, 0
                                        ; implicit-def: $vgpr9_vgpr10
.LBB4_11:                               ;   in Loop: Header=BB4_3 Depth=1
	s_and_b32 vcc_lo, exec_lo, s0
	s_cbranch_vccz .LBB4_14
; %bb.12:                               ;   in Loop: Header=BB4_3 Depth=1
	s_cmpk_eq_i32 s20, 0x79
                                        ; implicit-def: $vgpr9_vgpr10
	s_cbranch_scc0 .LBB4_14
; %bb.13:                               ;   in Loop: Header=BB4_3 Depth=1
	v_lshlrev_b64 v[9:10], 3, v[7:8]
	s_mov_b32 s21, -1
	s_delay_alu instid0(VALU_DEP_1) | instskip(NEXT) | instid1(VALU_DEP_2)
	v_cvt_f64_u32_e32 v[14:15], v10
	v_or_b32_e32 v9, 1, v9
	s_delay_alu instid0(VALU_DEP_1) | instskip(NEXT) | instid1(VALU_DEP_3)
	v_cvt_f64_u32_e32 v[9:10], v9
	v_ldexp_f64 v[14:15], v[14:15], 32
	s_delay_alu instid0(VALU_DEP_1) | instskip(NEXT) | instid1(VALU_DEP_1)
	v_add_f64 v[9:10], v[14:15], v[9:10]
	v_cmp_gt_f64_e32 vcc_lo, 0x10000000, v[9:10]
	v_cndmask_b32_e64 v14, 0, 1, vcc_lo
	s_delay_alu instid0(VALU_DEP_1) | instskip(NEXT) | instid1(VALU_DEP_1)
	v_lshlrev_b32_e32 v14, 8, v14
	v_ldexp_f64 v[9:10], v[9:10], v14
	s_delay_alu instid0(VALU_DEP_1) | instskip(SKIP_3) | instid1(VALU_DEP_1)
	v_rsq_f64_e32 v[14:15], v[9:10]
	s_waitcnt_depctr 0xfff
	v_mul_f64 v[16:17], v[9:10], v[14:15]
	v_mul_f64 v[14:15], v[14:15], 0.5
	v_fma_f64 v[18:19], -v[14:15], v[16:17], 0.5
	s_delay_alu instid0(VALU_DEP_1) | instskip(SKIP_1) | instid1(VALU_DEP_2)
	v_fma_f64 v[16:17], v[16:17], v[18:19], v[16:17]
	v_fma_f64 v[14:15], v[14:15], v[18:19], v[14:15]
	v_fma_f64 v[18:19], -v[16:17], v[16:17], v[9:10]
	s_delay_alu instid0(VALU_DEP_1) | instskip(NEXT) | instid1(VALU_DEP_1)
	v_fma_f64 v[16:17], v[18:19], v[14:15], v[16:17]
	v_fma_f64 v[18:19], -v[16:17], v[16:17], v[9:10]
	s_delay_alu instid0(VALU_DEP_1) | instskip(SKIP_4) | instid1(VALU_DEP_4)
	v_fma_f64 v[14:15], v[18:19], v[14:15], v[16:17]
	v_cndmask_b32_e64 v16, 0, 0xffffff80, vcc_lo
	v_cmp_class_f64_e64 vcc_lo, v[9:10], 0x260
	v_mul_lo_u32 v17, v6, s4
	v_mul_lo_u32 v18, v5, s5
	v_ldexp_f64 v[14:15], v[14:15], v16
	s_delay_alu instid0(VALU_DEP_1) | instskip(NEXT) | instid1(VALU_DEP_1)
	v_dual_cndmask_b32 v10, v15, v10 :: v_dual_cndmask_b32 v9, v14, v9
	v_add_f64 v[9:10], v[9:10], -1.0
	s_delay_alu instid0(VALU_DEP_1) | instskip(NEXT) | instid1(VALU_DEP_1)
	v_mul_f64 v[9:10], v[9:10], 0.5
	v_trunc_f64_e32 v[9:10], v[9:10]
	s_delay_alu instid0(VALU_DEP_1) | instskip(NEXT) | instid1(VALU_DEP_1)
	v_ldexp_f64 v[14:15], v[9:10], 0xffffffe0
	v_floor_f64_e32 v[14:15], v[14:15]
	s_delay_alu instid0(VALU_DEP_1) | instskip(SKIP_1) | instid1(VALU_DEP_2)
	v_fma_f64 v[9:10], 0xc1f00000, v[14:15], v[9:10]
	v_cvt_u32_f64_e32 v15, v[14:15]
	v_cvt_u32_f64_e32 v14, v[9:10]
	v_mad_u64_u32 v[9:10], null, v5, s4, 0
	s_delay_alu instid0(VALU_DEP_3) | instskip(NEXT) | instid1(VALU_DEP_2)
	v_mul_lo_u32 v20, s18, v15
	v_add3_u32 v10, v10, v18, v17
	s_delay_alu instid0(VALU_DEP_1) | instskip(SKIP_4) | instid1(VALU_DEP_3)
	v_lshlrev_b64 v[9:10], 3, v[9:10]
	v_mad_u64_u32 v[5:6], null, v14, v14, v[14:15]
	v_mul_lo_u32 v19, v14, v15
	v_mul_lo_u32 v21, s19, v14
	v_mad_u64_u32 v[15:16], null, s18, v14, s[18:19]
	v_add3_u32 v6, v19, v6, v19
	s_delay_alu instid0(VALU_DEP_2) | instskip(NEXT) | instid1(VALU_DEP_2)
	v_add3_u32 v16, v21, v16, v20
	v_lshrrev_b64 v[5:6], 1, v[5:6]
	s_delay_alu instid0(VALU_DEP_2) | instskip(NEXT) | instid1(VALU_DEP_2)
	v_lshlrev_b64 v[14:15], 3, v[15:16]
	v_sub_co_u32 v5, vcc_lo, v7, v5
	s_delay_alu instid0(VALU_DEP_3) | instskip(SKIP_2) | instid1(VALU_DEP_3)
	v_sub_co_ci_u32_e32 v6, vcc_lo, v8, v6, vcc_lo
	v_add_co_u32 v7, vcc_lo, s6, v9
	v_add_co_ci_u32_e32 v8, vcc_lo, s7, v10, vcc_lo
	v_lshlrev_b64 v[5:6], 3, v[5:6]
	s_delay_alu instid0(VALU_DEP_3) | instskip(NEXT) | instid1(VALU_DEP_3)
	v_add_co_u32 v7, vcc_lo, v7, v14
	v_add_co_ci_u32_e32 v8, vcc_lo, v8, v15, vcc_lo
	s_delay_alu instid0(VALU_DEP_2) | instskip(NEXT) | instid1(VALU_DEP_2)
	v_add_co_u32 v9, vcc_lo, v7, v5
	v_add_co_ci_u32_e32 v10, vcc_lo, v8, v6, vcc_lo
.LBB4_14:                               ;   in Loop: Header=BB4_3 Depth=1
	s_and_b32 vcc_lo, exec_lo, s21
	s_cbranch_vccz .LBB4_2
; %bb.15:                               ;   in Loop: Header=BB4_3 Depth=1
	v_mov_b32_e32 v5, v4
	global_store_b64 v[9:10], v[4:5], off
	s_branch .LBB4_2
.LBB4_16:
	s_nop 0
	s_sendmsg sendmsg(MSG_DEALLOC_VGPRS)
	s_endpgm
	.section	.rodata,"a",@progbits
	.p2align	6, 0x0
	.amdhsa_kernel _ZL18rocblas_trtri_fillILi128EdPdEvP15_rocblas_handle13rocblas_fill_ililT1_llii
		.amdhsa_group_segment_fixed_size 0
		.amdhsa_private_segment_fixed_size 0
		.amdhsa_kernarg_size 328
		.amdhsa_user_sgpr_count 14
		.amdhsa_user_sgpr_dispatch_ptr 0
		.amdhsa_user_sgpr_queue_ptr 0
		.amdhsa_user_sgpr_kernarg_segment_ptr 1
		.amdhsa_user_sgpr_dispatch_id 0
		.amdhsa_user_sgpr_private_segment_size 0
		.amdhsa_wavefront_size32 1
		.amdhsa_uses_dynamic_stack 0
		.amdhsa_enable_private_segment 0
		.amdhsa_system_sgpr_workgroup_id_x 1
		.amdhsa_system_sgpr_workgroup_id_y 0
		.amdhsa_system_sgpr_workgroup_id_z 1
		.amdhsa_system_sgpr_workgroup_info 0
		.amdhsa_system_vgpr_workitem_id 0
		.amdhsa_next_free_vgpr 26
		.amdhsa_next_free_sgpr 23
		.amdhsa_reserve_vcc 1
		.amdhsa_float_round_mode_32 0
		.amdhsa_float_round_mode_16_64 0
		.amdhsa_float_denorm_mode_32 3
		.amdhsa_float_denorm_mode_16_64 3
		.amdhsa_dx10_clamp 1
		.amdhsa_ieee_mode 1
		.amdhsa_fp16_overflow 0
		.amdhsa_workgroup_processor_mode 1
		.amdhsa_memory_ordered 1
		.amdhsa_forward_progress 0
		.amdhsa_shared_vgpr_count 0
		.amdhsa_exception_fp_ieee_invalid_op 0
		.amdhsa_exception_fp_denorm_src 0
		.amdhsa_exception_fp_ieee_div_zero 0
		.amdhsa_exception_fp_ieee_overflow 0
		.amdhsa_exception_fp_ieee_underflow 0
		.amdhsa_exception_fp_ieee_inexact 0
		.amdhsa_exception_int_div_zero 0
	.end_amdhsa_kernel
	.section	.text._ZL18rocblas_trtri_fillILi128EdPdEvP15_rocblas_handle13rocblas_fill_ililT1_llii,"axG",@progbits,_ZL18rocblas_trtri_fillILi128EdPdEvP15_rocblas_handle13rocblas_fill_ililT1_llii,comdat
.Lfunc_end4:
	.size	_ZL18rocblas_trtri_fillILi128EdPdEvP15_rocblas_handle13rocblas_fill_ililT1_llii, .Lfunc_end4-_ZL18rocblas_trtri_fillILi128EdPdEvP15_rocblas_handle13rocblas_fill_ililT1_llii
                                        ; -- End function
	.section	.AMDGPU.csdata,"",@progbits
; Kernel info:
; codeLenInByte = 2404
; NumSgprs: 25
; NumVgprs: 26
; ScratchSize: 0
; MemoryBound: 0
; FloatMode: 240
; IeeeMode: 1
; LDSByteSize: 0 bytes/workgroup (compile time only)
; SGPRBlocks: 3
; VGPRBlocks: 3
; NumSGPRsForWavesPerEU: 25
; NumVGPRsForWavesPerEU: 26
; Occupancy: 16
; WaveLimiterHint : 0
; COMPUTE_PGM_RSRC2:SCRATCH_EN: 0
; COMPUTE_PGM_RSRC2:USER_SGPR: 14
; COMPUTE_PGM_RSRC2:TRAP_HANDLER: 0
; COMPUTE_PGM_RSRC2:TGID_X_EN: 1
; COMPUTE_PGM_RSRC2:TGID_Y_EN: 0
; COMPUTE_PGM_RSRC2:TGID_Z_EN: 1
; COMPUTE_PGM_RSRC2:TIDIG_COMP_CNT: 0
	.section	.text._ZL26rocblas_trtri_small_kernelILi16EdPKdPdEv13rocblas_fill_17rocblas_diagonal_iT1_lillT2_lilli,"axG",@progbits,_ZL26rocblas_trtri_small_kernelILi16EdPKdPdEv13rocblas_fill_17rocblas_diagonal_iT1_lillT2_lilli,comdat
	.globl	_ZL26rocblas_trtri_small_kernelILi16EdPKdPdEv13rocblas_fill_17rocblas_diagonal_iT1_lillT2_lilli ; -- Begin function _ZL26rocblas_trtri_small_kernelILi16EdPKdPdEv13rocblas_fill_17rocblas_diagonal_iT1_lillT2_lilli
	.p2align	8
	.type	_ZL26rocblas_trtri_small_kernelILi16EdPKdPdEv13rocblas_fill_17rocblas_diagonal_iT1_lillT2_lilli,@function
_ZL26rocblas_trtri_small_kernelILi16EdPKdPdEv13rocblas_fill_17rocblas_diagonal_iT1_lillT2_lilli: ; @_ZL26rocblas_trtri_small_kernelILi16EdPKdPdEv13rocblas_fill_17rocblas_diagonal_iT1_lillT2_lilli
; %bb.0:
	s_load_b128 s[16:19], s[0:1], 0x0
	s_waitcnt lgkmcnt(0)
	s_cmp_lt_i32 s18, 1
	s_cbranch_scc1 .LBB5_46
; %bb.1:
	s_load_b256 s[4:11], s[0:1], 0x28
	v_cmp_le_u32_e64 s3, s18, v0
	v_cmp_gt_u32_e64 s2, s18, v0
	s_delay_alu instid0(VALU_DEP_1)
	s_and_saveexec_b32 s19, s2
	s_cbranch_execz .LBB5_14
; %bb.2:
	s_clause 0x1
	s_load_b128 s[20:23], s[0:1], 0x10
	s_load_b32 s12, s[0:1], 0x20
	s_waitcnt lgkmcnt(0)
	s_mul_i32 s5, s15, s5
	s_mul_hi_u32 s13, s15, s4
	s_mul_i32 s24, s15, s4
	s_add_i32 s25, s13, s5
	s_mul_i32 s5, s14, s7
	s_mul_hi_u32 s7, s14, s6
	s_mul_i32 s6, s14, s6
	s_add_i32 s7, s7, s5
	s_cmpk_lg_i32 s16, 0x7a
	s_mov_b32 s4, -1
	s_cbranch_scc0 .LBB5_6
; %bb.3:
	s_ashr_i32 s13, s12, 31
	s_lshl_b32 s5, s18, 3
	s_ashr_i32 s4, s18, 31
	s_add_u32 s26, s18, -1
	s_addc_u32 s4, s4, -1
	s_mul_i32 s27, s26, s13
	s_mul_hi_u32 s28, s26, s12
	s_mul_i32 s4, s4, s12
	s_add_i32 s27, s28, s27
	s_mul_i32 s26, s26, s12
	s_add_i32 s27, s27, s4
	s_lshl_b64 s[28:29], s[6:7], 3
	s_lshl_b64 s[26:27], s[26:27], 3
	v_lshlrev_b32_e32 v1, 3, v0
	s_add_u32 s4, s26, s28
	s_addc_u32 s28, s27, s29
	s_lshl_b64 s[26:27], s[24:25], 3
	s_delay_alu instid0(SALU_CYCLE_1)
	s_add_u32 s4, s4, s26
	s_addc_u32 s28, s28, s27
	s_lshl_b64 s[26:27], s[22:23], 3
	v_sub_nc_u32_e32 v2, s5, v1
	s_add_u32 s4, s4, s26
	s_addc_u32 s26, s28, s27
	s_add_u32 s4, s20, s4
	s_addc_u32 s28, s21, s26
	v_add_co_u32 v1, s4, s4, v1
	v_add_nc_u32_e32 v3, -8, v2
	s_lshl_b64 s[26:27], s[12:13], 3
	v_add_co_ci_u32_e64 v2, null, s28, 0, s4
	s_sub_u32 s13, 0, s26
	s_subb_u32 s27, 0, s27
	s_mov_b32 s26, 0
	s_mov_b32 s28, s18
.LBB5_4:                                ; =>This Inner Loop Header: Depth=1
	global_load_b64 v[4:5], v[1:2], off
	s_add_i32 s28, s28, -1
	v_add_co_u32 v1, vcc_lo, v1, s13
	v_cmp_le_i32_e64 s4, s28, v0
	v_add_co_ci_u32_e32 v2, vcc_lo, s27, v2, vcc_lo
	s_delay_alu instid0(VALU_DEP_2)
	s_or_b32 s26, s4, s26
	s_waitcnt vmcnt(0)
	ds_store_b64 v3, v[4:5]
	v_add_nc_u32_e32 v3, s5, v3
	s_and_not1_b32 exec_lo, exec_lo, s26
	s_cbranch_execnz .LBB5_4
; %bb.5:
	s_or_b32 exec_lo, exec_lo, s26
	s_mov_b32 s4, 0
.LBB5_6:
	s_delay_alu instid0(SALU_CYCLE_1)
	s_and_b32 vcc_lo, exec_lo, s4
	s_cbranch_vccz .LBB5_14
; %bb.7:
	v_dual_mov_b32 v3, 0 :: v_dual_add_nc_u32 v4, 1, v0
	s_ashr_i32 s13, s12, 31
	s_mov_b32 s5, exec_lo
	v_cmpx_lt_u32_e32 2, v0
	s_cbranch_execz .LBB5_11
; %bb.8:
	s_lshl_b64 s[26:27], s[24:25], 3
	v_lshlrev_b32_e32 v5, 3, v0
	s_add_u32 s4, s20, s26
	s_addc_u32 s28, s21, s27
	s_lshl_b64 s[26:27], s[22:23], 3
	v_and_b32_e32 v3, 28, v4
	s_add_u32 s4, s4, s26
	s_addc_u32 s28, s28, s27
	s_lshl_b64 s[26:27], s[6:7], 3
	s_mul_hi_i32 s33, s12, 24
	s_add_u32 s4, s4, s26
	s_addc_u32 s26, s28, s27
	v_add_co_u32 v1, s4, s4, v5
	s_delay_alu instid0(VALU_DEP_1)
	v_add_co_ci_u32_e64 v2, null, s26, 0, s4
	s_mul_i32 s34, s12, 24
	s_lshl_b64 s[26:27], s[12:13], 5
	s_lshl_b64 s[28:29], s[12:13], 4
	;; [unrolled: 1-line block ×3, first 2 shown]
	s_lshl_b32 s35, s18, 3
	s_lshl_b32 s36, s18, 5
	s_lshl_b32 s37, s18, 4
	s_mul_i32 s39, s18, 24
	s_mov_b32 s38, 0
	s_mov_b32 s40, 0
	s_set_inst_prefetch_distance 0x1
	.p2align	6
.LBB5_9:                                ; =>This Inner Loop Header: Depth=1
	v_add_co_u32 v6, vcc_lo, v1, s30
	v_add_co_ci_u32_e32 v7, vcc_lo, s31, v2, vcc_lo
	v_add_co_u32 v8, vcc_lo, v1, s28
	v_add_co_ci_u32_e32 v9, vcc_lo, s29, v2, vcc_lo
	;; [unrolled: 2-line block ×3, first 2 shown]
	s_clause 0x3
	global_load_b64 v[12:13], v[1:2], off
	global_load_b64 v[6:7], v[6:7], off
	;; [unrolled: 1-line block ×4, first 2 shown]
	s_add_i32 s40, s40, 4
	v_add_co_u32 v1, s4, v1, s26
	v_cmp_eq_u32_e32 vcc_lo, s40, v3
	v_add_nc_u32_e32 v14, s35, v5
	v_add_nc_u32_e32 v15, s37, v5
	;; [unrolled: 1-line block ×3, first 2 shown]
	v_add_co_ci_u32_e64 v2, s4, s27, v2, s4
	s_or_b32 s38, vcc_lo, s38
	s_waitcnt vmcnt(3)
	ds_store_b64 v5, v[12:13]
	v_add_nc_u32_e32 v5, s36, v5
	s_waitcnt vmcnt(2)
	ds_store_b64 v14, v[6:7]
	s_waitcnt vmcnt(1)
	ds_store_b64 v15, v[8:9]
	;; [unrolled: 2-line block ×3, first 2 shown]
	s_and_not1_b32 exec_lo, exec_lo, s38
	s_cbranch_execnz .LBB5_9
; %bb.10:
	s_set_inst_prefetch_distance 0x2
	s_or_b32 exec_lo, exec_lo, s38
.LBB5_11:
	s_delay_alu instid0(SALU_CYCLE_1) | instskip(SKIP_2) | instid1(VALU_DEP_1)
	s_or_b32 exec_lo, exec_lo, s5
	v_and_b32_e32 v4, 3, v4
	s_mov_b32 s5, 0
	v_cmp_ne_u32_e32 vcc_lo, 0, v4
	s_and_b32 exec_lo, exec_lo, vcc_lo
	s_cbranch_execz .LBB5_14
; %bb.12:
	v_mad_i64_i32 v[1:2], null, s12, v3, 0
	s_lshl_b64 s[6:7], s[6:7], 3
	s_lshl_b64 s[26:27], s[24:25], 3
	s_lshl_b32 s24, s18, 3
	s_add_u32 s4, s6, s26
	s_addc_u32 s25, s7, s27
	s_lshl_b64 s[6:7], s[22:23], 3
	s_delay_alu instid0(VALU_DEP_1) | instskip(SKIP_4) | instid1(VALU_DEP_3)
	v_lshlrev_b64 v[1:2], 3, v[1:2]
	s_add_u32 s4, s6, s4
	v_lshlrev_b32_e32 v5, 3, v0
	s_addc_u32 s6, s7, s25
	v_mul_lo_u32 v3, v3, s18
	v_add_co_u32 v1, vcc_lo, s4, v1
	v_add_co_ci_u32_e32 v2, vcc_lo, s6, v2, vcc_lo
	s_lshl_b64 s[6:7], s[12:13], 3
	s_delay_alu instid0(VALU_DEP_2) | instskip(NEXT) | instid1(VALU_DEP_2)
	v_add_co_u32 v1, vcc_lo, v1, v5
	v_add_co_ci_u32_e32 v2, vcc_lo, 0, v2, vcc_lo
	v_add_lshl_u32 v3, v0, v3, 3
	s_delay_alu instid0(VALU_DEP_3) | instskip(NEXT) | instid1(VALU_DEP_3)
	v_add_co_u32 v1, vcc_lo, s20, v1
	v_add_co_ci_u32_e32 v2, vcc_lo, s21, v2, vcc_lo
.LBB5_13:                               ; =>This Inner Loop Header: Depth=1
	global_load_b64 v[5:6], v[1:2], off
	v_add_nc_u32_e32 v4, -1, v4
	v_add_co_u32 v1, vcc_lo, v1, s6
	v_add_co_ci_u32_e32 v2, vcc_lo, s7, v2, vcc_lo
	s_delay_alu instid0(VALU_DEP_3) | instskip(NEXT) | instid1(VALU_DEP_1)
	v_cmp_eq_u32_e64 s4, 0, v4
	s_or_b32 s5, s4, s5
	s_waitcnt vmcnt(0)
	ds_store_b64 v3, v[5:6]
	v_add_nc_u32_e32 v3, s24, v3
	s_and_not1_b32 exec_lo, exec_lo, s5
	s_cbranch_execnz .LBB5_13
.LBB5_14:
	s_or_b32 exec_lo, exec_lo, s19
	s_waitcnt vmcnt(0) lgkmcnt(0)
	s_waitcnt_vscnt null, 0x0
	; wave barrier
	s_waitcnt lgkmcnt(0)
	buffer_gl0_inv
                                        ; implicit-def: $vgpr1
	s_and_saveexec_b32 s4, s3
	s_delay_alu instid0(SALU_CYCLE_1)
	s_xor_b32 s3, exec_lo, s4
; %bb.15:
	v_mad_u64_u32 v[1:2], null, v0, s18, v[0:1]
; %bb.16:
	s_and_not1_saveexec_b32 s3, s3
	s_cbranch_execz .LBB5_22
; %bb.17:
	s_delay_alu instid0(VALU_DEP_1) | instskip(SKIP_3) | instid1(VALU_DEP_3)
	v_mad_u64_u32 v[1:2], null, v0, s18, v[0:1]
	v_mov_b32_e32 v2, 0
	v_mov_b32_e32 v3, 0x3ff00000
	s_cmpk_eq_i32 s17, 0x84
	v_lshlrev_b32_e32 v6, 3, v1
	s_cbranch_scc1 .LBB5_21
; %bb.18:
	ds_load_b64 v[4:5], v6
	v_mov_b32_e32 v2, 0
	v_mov_b32_e32 v3, 0x3ff00000
	s_mov_b32 s4, exec_lo
	s_waitcnt lgkmcnt(0)
	v_cmpx_neq_f64_e32 0, v[4:5]
; %bb.19:
	v_div_scale_f64 v[2:3], null, v[4:5], v[4:5], 1.0
	s_delay_alu instid0(VALU_DEP_1) | instskip(SKIP_2) | instid1(VALU_DEP_1)
	v_rcp_f64_e32 v[7:8], v[2:3]
	s_waitcnt_depctr 0xfff
	v_fma_f64 v[9:10], -v[2:3], v[7:8], 1.0
	v_fma_f64 v[7:8], v[7:8], v[9:10], v[7:8]
	s_delay_alu instid0(VALU_DEP_1) | instskip(NEXT) | instid1(VALU_DEP_1)
	v_fma_f64 v[9:10], -v[2:3], v[7:8], 1.0
	v_fma_f64 v[7:8], v[7:8], v[9:10], v[7:8]
	v_div_scale_f64 v[9:10], vcc_lo, 1.0, v[4:5], 1.0
	s_delay_alu instid0(VALU_DEP_1) | instskip(NEXT) | instid1(VALU_DEP_1)
	v_mul_f64 v[11:12], v[9:10], v[7:8]
	v_fma_f64 v[2:3], -v[2:3], v[11:12], v[9:10]
	s_delay_alu instid0(VALU_DEP_1) | instskip(NEXT) | instid1(VALU_DEP_1)
	v_div_fmas_f64 v[2:3], v[2:3], v[7:8], v[11:12]
	v_div_fixup_f64 v[2:3], v[2:3], v[4:5], 1.0
; %bb.20:
	s_or_b32 exec_lo, exec_lo, s4
.LBB5_21:
	ds_store_b64 v6, v[2:3]
.LBB5_22:
	s_or_b32 exec_lo, exec_lo, s3
	s_delay_alu instid0(VALU_DEP_1)
	v_lshlrev_b32_e32 v3, 3, v1
	v_add_lshl_u32 v4, v0, s18, 3
	s_lshl_b32 s19, s18, 3
	s_mov_b32 s3, 8
	s_add_i32 s4, s19, 8
	s_mov_b32 s5, 0
	s_waitcnt vmcnt(0) lgkmcnt(0)
	s_waitcnt_vscnt null, 0x0
	; wave barrier
	s_waitcnt lgkmcnt(0)
	buffer_gl0_inv
	s_branch .LBB5_24
.LBB5_23:                               ;   in Loop: Header=BB5_24 Depth=1
	s_set_inst_prefetch_distance 0x2
	v_add_nc_u32_e32 v4, s19, v4
	s_add_i32 s3, s3, s4
	s_cmp_eq_u32 s5, s18
	s_waitcnt vmcnt(0) lgkmcnt(0)
	s_waitcnt_vscnt null, 0x0
	; wave barrier
	buffer_gl0_inv
	s_cbranch_scc1 .LBB5_33
.LBB5_24:                               ; =>This Loop Header: Depth=1
                                        ;     Child Loop BB5_29 Depth 2
	s_mul_i32 s7, s5, s18
	v_mov_b32_e32 v1, 0
	v_mov_b32_e32 v2, 0
	v_add_lshl_u32 v5, s7, v0, 3
	s_mov_b32 s6, exec_lo
	v_cmpx_lt_u32_e64 s5, v0
	s_cbranch_execz .LBB5_26
; %bb.25:                               ;   in Loop: Header=BB5_24 Depth=1
	s_add_i32 s7, s7, s5
	s_delay_alu instid0(SALU_CYCLE_1) | instskip(NEXT) | instid1(SALU_CYCLE_1)
	s_lshl_b32 s7, s7, 3
	v_mov_b32_e32 v6, s7
	ds_load_b64 v[1:2], v5
	ds_load_b64 v[6:7], v6
	s_waitcnt lgkmcnt(0)
	v_fma_f64 v[1:2], v[1:2], v[6:7], 0
.LBB5_26:                               ;   in Loop: Header=BB5_24 Depth=1
	s_or_b32 exec_lo, exec_lo, s6
	s_add_i32 s5, s5, 1
	s_delay_alu instid0(SALU_CYCLE_1)
	s_cmp_ge_i32 s5, s18
	; wave barrier
	buffer_gl0_inv
	s_cbranch_scc1 .LBB5_23
; %bb.27:                               ;   in Loop: Header=BB5_24 Depth=1
	v_mov_b32_e32 v6, v4
	s_mov_b32 s6, s3
	s_mov_b32 s7, s5
	s_set_inst_prefetch_distance 0x1
	s_branch .LBB5_29
	.p2align	6
.LBB5_28:                               ;   in Loop: Header=BB5_29 Depth=2
	s_or_b32 exec_lo, exec_lo, s12
	v_add_nc_u32_e32 v6, s19, v6
	s_add_i32 s7, s7, 1
	s_add_i32 s6, s6, 8
	s_cmp_ge_i32 s7, s18
	s_waitcnt vmcnt(0) lgkmcnt(0)
	s_waitcnt_vscnt null, 0x0
	; wave barrier
	buffer_gl0_inv
	s_cbranch_scc1 .LBB5_23
.LBB5_29:                               ;   Parent Loop BB5_24 Depth=1
                                        ; =>  This Inner Loop Header: Depth=2
	s_mov_b32 s12, exec_lo
	v_cmpx_eq_u32_e64 s7, v0
	s_cbranch_execz .LBB5_31
; %bb.30:                               ;   in Loop: Header=BB5_29 Depth=2
	v_add_f64 v[7:8], -v[1:2], 0
	ds_load_b64 v[9:10], v3
	s_waitcnt lgkmcnt(0)
	v_mul_f64 v[7:8], v[7:8], v[9:10]
	ds_store_b64 v5, v[7:8]
.LBB5_31:                               ;   in Loop: Header=BB5_29 Depth=2
	s_or_b32 exec_lo, exec_lo, s12
	s_delay_alu instid0(SALU_CYCLE_1)
	s_mov_b32 s12, exec_lo
	s_waitcnt vmcnt(0) lgkmcnt(0)
	s_waitcnt_vscnt null, 0x0
	; wave barrier
	s_waitcnt lgkmcnt(0)
	buffer_gl0_inv
	v_cmpx_lt_u32_e64 s7, v0
	s_cbranch_execz .LBB5_28
; %bb.32:                               ;   in Loop: Header=BB5_29 Depth=2
	v_mov_b32_e32 v9, s6
	ds_load_b64 v[7:8], v6
	ds_load_b64 v[9:10], v9
	s_waitcnt lgkmcnt(0)
	v_fma_f64 v[1:2], v[7:8], v[9:10], v[1:2]
	s_branch .LBB5_28
.LBB5_33:
	s_and_saveexec_b32 s3, s2
	s_cbranch_execz .LBB5_46
; %bb.34:
	s_clause 0x1
	s_load_b128 s[4:7], s[0:1], 0x50
	s_load_b32 s2, s[0:1], 0x48
	v_lshlrev_b32_e32 v3, 3, v0
	s_waitcnt lgkmcnt(0)
	s_mul_i32 s0, s15, s5
	s_mul_hi_u32 s1, s15, s4
	s_mul_i32 s3, s14, s7
	s_mul_hi_u32 s7, s14, s6
	s_add_i32 s5, s1, s0
	s_add_i32 s7, s7, s3
	s_mul_i32 s4, s15, s4
	s_mul_i32 s6, s14, s6
	s_cmpk_lg_i32 s16, 0x7a
	s_mov_b32 s0, -1
	s_cbranch_scc0 .LBB5_38
; %bb.35:
	s_add_i32 s14, s18, -1
	s_lshl_b64 s[0:1], s[6:7], 3
	s_lshl_b64 s[12:13], s[4:5], 3
	s_ashr_i32 s3, s2, 31
	s_add_u32 s12, s0, s12
	s_mul_i32 s0, s3, s14
	s_mul_hi_u32 s15, s2, s14
	s_addc_u32 s13, s1, s13
	s_add_i32 s1, s15, s0
	s_mul_i32 s0, s2, s14
	v_lshlrev_b32_e32 v1, 3, v0
	s_lshl_b64 s[0:1], s[0:1], 3
	s_delay_alu instid0(SALU_CYCLE_1)
	s_add_u32 s12, s12, s0
	s_addc_u32 s13, s13, s1
	s_lshl_b64 s[0:1], s[10:11], 3
	v_sub_nc_u32_e32 v4, s19, v1
	s_add_u32 s0, s12, s0
	s_addc_u32 s1, s13, s1
	s_add_u32 s0, s8, s0
	s_addc_u32 s1, s9, s1
	v_add_co_u32 v1, s0, s0, v1
	s_lshl_b64 s[12:13], s[2:3], 3
	v_add_co_ci_u32_e64 v2, null, s1, 0, s0
	v_add_nc_u32_e32 v4, -8, v4
	s_sub_u32 s1, 0, s12
	s_subb_u32 s12, 0, s13
	s_mov_b32 s3, 0
	s_mov_b32 s13, s18
.LBB5_36:                               ; =>This Inner Loop Header: Depth=1
	ds_load_b64 v[5:6], v4
	s_add_i32 s13, s13, -1
	v_add_nc_u32_e32 v4, s19, v4
	v_cmp_le_i32_e32 vcc_lo, s13, v0
	s_or_b32 s3, vcc_lo, s3
	s_waitcnt lgkmcnt(0)
	global_store_b64 v[1:2], v[5:6], off
	v_add_co_u32 v1, s0, v1, s1
	s_delay_alu instid0(VALU_DEP_1)
	v_add_co_ci_u32_e64 v2, s0, s12, v2, s0
	s_and_not1_b32 exec_lo, exec_lo, s3
	s_cbranch_execnz .LBB5_36
; %bb.37:
	s_or_b32 exec_lo, exec_lo, s3
	s_mov_b32 s0, 0
.LBB5_38:
	s_delay_alu instid0(SALU_CYCLE_1)
	s_and_b32 vcc_lo, exec_lo, s0
	s_cbranch_vccz .LBB5_46
; %bb.39:
	v_dual_mov_b32 v4, 0 :: v_dual_add_nc_u32 v5, 1, v0
	s_ashr_i32 s3, s2, 31
	s_mov_b32 s1, exec_lo
	v_cmpx_lt_u32_e32 2, v0
	s_cbranch_execz .LBB5_43
; %bb.40:
	s_lshl_b64 s[12:13], s[4:5], 3
	v_and_b32_e32 v4, 28, v5
	s_add_u32 s0, s8, s12
	s_addc_u32 s14, s9, s13
	s_lshl_b64 s[12:13], s[10:11], 3
	v_mov_b32_e32 v6, v3
	s_add_u32 s0, s0, s12
	s_addc_u32 s14, s14, s13
	s_lshl_b64 s[12:13], s[6:7], 3
	s_mul_hi_i32 s20, s2, 24
	s_add_u32 s0, s0, s12
	s_addc_u32 s12, s14, s13
	v_add_co_u32 v1, s0, s0, v3
	s_delay_alu instid0(VALU_DEP_1)
	v_add_co_ci_u32_e64 v2, null, s12, 0, s0
	s_mul_i32 s21, s2, 24
	s_lshl_b64 s[12:13], s[2:3], 5
	s_lshl_b64 s[14:15], s[2:3], 4
	;; [unrolled: 1-line block ×3, first 2 shown]
	s_lshl_b32 s22, s18, 5
	s_lshl_b32 s23, s18, 4
	s_mul_i32 s25, s18, 24
	s_mov_b32 s24, 0
	s_mov_b32 s26, 0
	s_set_inst_prefetch_distance 0x1
	.p2align	6
.LBB5_41:                               ; =>This Inner Loop Header: Depth=1
	ds_load_b64 v[7:8], v6
	v_add_nc_u32_e32 v11, s19, v6
	v_add_nc_u32_e32 v13, s23, v6
	;; [unrolled: 1-line block ×3, first 2 shown]
	v_add_co_u32 v9, vcc_lo, v1, s16
	ds_load_b64 v[11:12], v11
	ds_load_b64 v[13:14], v13
	;; [unrolled: 1-line block ×3, first 2 shown]
	v_add_co_ci_u32_e32 v10, vcc_lo, s17, v2, vcc_lo
	v_add_co_u32 v17, vcc_lo, v1, s14
	v_add_co_ci_u32_e32 v18, vcc_lo, s15, v2, vcc_lo
	v_add_co_u32 v19, vcc_lo, v1, s21
	s_add_i32 s26, s26, 4
	v_add_co_ci_u32_e32 v20, vcc_lo, s20, v2, vcc_lo
	v_cmp_eq_u32_e32 vcc_lo, s26, v4
	v_add_nc_u32_e32 v6, s22, v6
	s_waitcnt lgkmcnt(3)
	global_store_b64 v[1:2], v[7:8], off
	v_add_co_u32 v1, s0, v1, s12
	s_delay_alu instid0(VALU_DEP_1)
	v_add_co_ci_u32_e64 v2, s0, s13, v2, s0
	s_or_b32 s24, vcc_lo, s24
	s_waitcnt lgkmcnt(2)
	global_store_b64 v[9:10], v[11:12], off
	s_waitcnt lgkmcnt(1)
	global_store_b64 v[17:18], v[13:14], off
	;; [unrolled: 2-line block ×3, first 2 shown]
	s_and_not1_b32 exec_lo, exec_lo, s24
	s_cbranch_execnz .LBB5_41
; %bb.42:
	s_set_inst_prefetch_distance 0x2
	s_or_b32 exec_lo, exec_lo, s24
.LBB5_43:
	s_delay_alu instid0(SALU_CYCLE_1) | instskip(SKIP_2) | instid1(VALU_DEP_1)
	s_or_b32 exec_lo, exec_lo, s1
	v_and_b32_e32 v5, 3, v5
	s_mov_b32 s1, 0
	v_cmp_ne_u32_e32 vcc_lo, 0, v5
	s_and_b32 exec_lo, exec_lo, vcc_lo
	s_cbranch_execz .LBB5_46
; %bb.44:
	v_mad_i64_i32 v[1:2], null, s2, v4, 0
	s_lshl_b64 s[6:7], s[6:7], 3
	s_lshl_b64 s[4:5], s[4:5], 3
	v_mul_lo_u32 v4, v4, s18
	s_add_u32 s0, s6, s4
	s_addc_u32 s6, s7, s5
	s_lshl_b64 s[4:5], s[10:11], 3
	s_delay_alu instid0(VALU_DEP_2) | instskip(SKIP_4) | instid1(VALU_DEP_2)
	v_lshlrev_b64 v[1:2], 3, v[1:2]
	s_add_u32 s0, s4, s0
	s_addc_u32 s4, s5, s6
	s_lshl_b64 s[2:3], s[2:3], 3
	v_add_lshl_u32 v0, v0, v4, 3
	v_add_co_u32 v1, vcc_lo, s0, v1
	v_add_co_ci_u32_e32 v2, vcc_lo, s4, v2, vcc_lo
	s_delay_alu instid0(VALU_DEP_2) | instskip(NEXT) | instid1(VALU_DEP_2)
	v_add_co_u32 v1, vcc_lo, v1, v3
	v_add_co_ci_u32_e32 v2, vcc_lo, 0, v2, vcc_lo
	s_delay_alu instid0(VALU_DEP_2) | instskip(NEXT) | instid1(VALU_DEP_2)
	v_add_co_u32 v1, vcc_lo, s8, v1
	v_add_co_ci_u32_e32 v2, vcc_lo, s9, v2, vcc_lo
.LBB5_45:                               ; =>This Inner Loop Header: Depth=1
	ds_load_b64 v[3:4], v0
	v_add_nc_u32_e32 v5, -1, v5
	v_add_nc_u32_e32 v0, s19, v0
	s_delay_alu instid0(VALU_DEP_2) | instskip(SKIP_4) | instid1(VALU_DEP_1)
	v_cmp_eq_u32_e32 vcc_lo, 0, v5
	s_or_b32 s1, vcc_lo, s1
	s_waitcnt lgkmcnt(0)
	global_store_b64 v[1:2], v[3:4], off
	v_add_co_u32 v1, s0, v1, s2
	v_add_co_ci_u32_e64 v2, s0, s3, v2, s0
	s_and_not1_b32 exec_lo, exec_lo, s1
	s_cbranch_execnz .LBB5_45
.LBB5_46:
	s_nop 0
	s_sendmsg sendmsg(MSG_DEALLOC_VGPRS)
	s_endpgm
	.section	.rodata,"a",@progbits
	.p2align	6, 0x0
	.amdhsa_kernel _ZL26rocblas_trtri_small_kernelILi16EdPKdPdEv13rocblas_fill_17rocblas_diagonal_iT1_lillT2_lilli
		.amdhsa_group_segment_fixed_size 2048
		.amdhsa_private_segment_fixed_size 0
		.amdhsa_kernarg_size 100
		.amdhsa_user_sgpr_count 14
		.amdhsa_user_sgpr_dispatch_ptr 0
		.amdhsa_user_sgpr_queue_ptr 0
		.amdhsa_user_sgpr_kernarg_segment_ptr 1
		.amdhsa_user_sgpr_dispatch_id 0
		.amdhsa_user_sgpr_private_segment_size 0
		.amdhsa_wavefront_size32 1
		.amdhsa_uses_dynamic_stack 0
		.amdhsa_enable_private_segment 0
		.amdhsa_system_sgpr_workgroup_id_x 1
		.amdhsa_system_sgpr_workgroup_id_y 0
		.amdhsa_system_sgpr_workgroup_id_z 1
		.amdhsa_system_sgpr_workgroup_info 0
		.amdhsa_system_vgpr_workitem_id 0
		.amdhsa_next_free_vgpr 21
		.amdhsa_next_free_sgpr 41
		.amdhsa_reserve_vcc 1
		.amdhsa_float_round_mode_32 0
		.amdhsa_float_round_mode_16_64 0
		.amdhsa_float_denorm_mode_32 3
		.amdhsa_float_denorm_mode_16_64 3
		.amdhsa_dx10_clamp 1
		.amdhsa_ieee_mode 1
		.amdhsa_fp16_overflow 0
		.amdhsa_workgroup_processor_mode 1
		.amdhsa_memory_ordered 1
		.amdhsa_forward_progress 0
		.amdhsa_shared_vgpr_count 0
		.amdhsa_exception_fp_ieee_invalid_op 0
		.amdhsa_exception_fp_denorm_src 0
		.amdhsa_exception_fp_ieee_div_zero 0
		.amdhsa_exception_fp_ieee_overflow 0
		.amdhsa_exception_fp_ieee_underflow 0
		.amdhsa_exception_fp_ieee_inexact 0
		.amdhsa_exception_int_div_zero 0
	.end_amdhsa_kernel
	.section	.text._ZL26rocblas_trtri_small_kernelILi16EdPKdPdEv13rocblas_fill_17rocblas_diagonal_iT1_lillT2_lilli,"axG",@progbits,_ZL26rocblas_trtri_small_kernelILi16EdPKdPdEv13rocblas_fill_17rocblas_diagonal_iT1_lillT2_lilli,comdat
.Lfunc_end5:
	.size	_ZL26rocblas_trtri_small_kernelILi16EdPKdPdEv13rocblas_fill_17rocblas_diagonal_iT1_lillT2_lilli, .Lfunc_end5-_ZL26rocblas_trtri_small_kernelILi16EdPKdPdEv13rocblas_fill_17rocblas_diagonal_iT1_lillT2_lilli
                                        ; -- End function
	.section	.AMDGPU.csdata,"",@progbits
; Kernel info:
; codeLenInByte = 2328
; NumSgprs: 43
; NumVgprs: 21
; ScratchSize: 0
; MemoryBound: 0
; FloatMode: 240
; IeeeMode: 1
; LDSByteSize: 2048 bytes/workgroup (compile time only)
; SGPRBlocks: 5
; VGPRBlocks: 2
; NumSGPRsForWavesPerEU: 43
; NumVGPRsForWavesPerEU: 21
; Occupancy: 16
; WaveLimiterHint : 0
; COMPUTE_PGM_RSRC2:SCRATCH_EN: 0
; COMPUTE_PGM_RSRC2:USER_SGPR: 14
; COMPUTE_PGM_RSRC2:TRAP_HANDLER: 0
; COMPUTE_PGM_RSRC2:TGID_X_EN: 1
; COMPUTE_PGM_RSRC2:TGID_Y_EN: 0
; COMPUTE_PGM_RSRC2:TGID_Z_EN: 1
; COMPUTE_PGM_RSRC2:TIDIG_COMP_CNT: 0
	.section	.text._ZL29rocblas_trtri_diagonal_kernelILi16EdPKdPdEv13rocblas_fill_17rocblas_diagonal_iT1_lillT2_lilli,"axG",@progbits,_ZL29rocblas_trtri_diagonal_kernelILi16EdPKdPdEv13rocblas_fill_17rocblas_diagonal_iT1_lillT2_lilli,comdat
	.globl	_ZL29rocblas_trtri_diagonal_kernelILi16EdPKdPdEv13rocblas_fill_17rocblas_diagonal_iT1_lillT2_lilli ; -- Begin function _ZL29rocblas_trtri_diagonal_kernelILi16EdPKdPdEv13rocblas_fill_17rocblas_diagonal_iT1_lillT2_lilli
	.p2align	8
	.type	_ZL29rocblas_trtri_diagonal_kernelILi16EdPKdPdEv13rocblas_fill_17rocblas_diagonal_iT1_lillT2_lilli,@function
_ZL29rocblas_trtri_diagonal_kernelILi16EdPKdPdEv13rocblas_fill_17rocblas_diagonal_iT1_lillT2_lilli: ; @_ZL29rocblas_trtri_diagonal_kernelILi16EdPKdPdEv13rocblas_fill_17rocblas_diagonal_iT1_lillT2_lilli
; %bb.0:
	s_load_b128 s[8:11], s[0:1], 0x0
	s_waitcnt lgkmcnt(0)
	s_ashr_i32 s2, s10, 31
	s_delay_alu instid0(SALU_CYCLE_1) | instskip(NEXT) | instid1(SALU_CYCLE_1)
	s_lshr_b32 s2, s2, 27
	s_add_i32 s2, s10, s2
	s_delay_alu instid0(SALU_CYCLE_1) | instskip(NEXT) | instid1(SALU_CYCLE_1)
	s_ashr_i32 s2, s2, 5
	v_cvt_f32_u32_e32 v1, s2
	s_sub_i32 s4, 0, s2
	s_delay_alu instid0(VALU_DEP_1) | instskip(SKIP_2) | instid1(VALU_DEP_1)
	v_rcp_iflag_f32_e32 v1, v1
	s_waitcnt_depctr 0xfff
	v_mul_f32_e32 v1, 0x4f7ffffe, v1
	v_cvt_u32_f32_e32 v1, v1
	s_delay_alu instid0(VALU_DEP_1) | instskip(NEXT) | instid1(VALU_DEP_1)
	v_readfirstlane_b32 s3, v1
	s_mul_i32 s4, s4, s3
	s_delay_alu instid0(SALU_CYCLE_1) | instskip(NEXT) | instid1(SALU_CYCLE_1)
	s_mul_hi_u32 s4, s3, s4
	s_add_i32 s3, s3, s4
	s_delay_alu instid0(SALU_CYCLE_1) | instskip(NEXT) | instid1(SALU_CYCLE_1)
	s_mul_hi_u32 s3, s14, s3
	s_mul_i32 s4, s3, s2
	s_add_i32 s5, s3, 1
	s_sub_i32 s4, s14, s4
	s_delay_alu instid0(SALU_CYCLE_1)
	s_sub_i32 s6, s4, s2
	s_cmp_ge_u32 s4, s2
	s_cselect_b32 s3, s5, s3
	s_cselect_b32 s4, s6, s4
	s_add_i32 s5, s3, 1
	s_cmp_ge_u32 s4, s2
	s_cselect_b32 s29, s5, s3
	s_delay_alu instid0(SALU_CYCLE_1) | instskip(NEXT) | instid1(SALU_CYCLE_1)
	s_mul_i32 s2, s29, s2
	s_sub_i32 s30, s14, s2
	s_delay_alu instid0(SALU_CYCLE_1) | instskip(NEXT) | instid1(SALU_CYCLE_1)
	s_lshl_b32 s2, s30, 4
	s_cmp_eq_u32 s10, s2
	s_cbranch_scc1 .LBB6_101
; %bb.1:
	s_sub_i32 s28, s10, s2
	v_mov_b32_e32 v1, v0
	s_min_u32 s14, s28, 16
	s_delay_alu instid0(SALU_CYCLE_1) | instskip(SKIP_4) | instid1(VALU_DEP_3)
	s_lshl_b32 s6, s14, 1
	v_cmp_gt_u32_e64 s4, s14, v0
	v_cmp_le_u32_e64 s2, s14, v0
	v_cmp_gt_u32_e64 s3, s6, v0
	v_cmp_le_u32_e32 vcc_lo, s6, v0
	s_and_saveexec_b32 s5, s2
	s_cbranch_execz .LBB6_7
; %bb.2:
                                        ; implicit-def: $vgpr1
	s_and_saveexec_b32 s7, vcc_lo
	s_delay_alu instid0(SALU_CYCLE_1)
	s_xor_b32 s7, exec_lo, s7
; %bb.3:
	v_subrev_nc_u32_e32 v1, s6, v0
; %bb.4:
	s_and_not1_saveexec_b32 s6, s7
; %bb.5:
	v_subrev_nc_u32_e32 v1, s14, v0
; %bb.6:
	s_or_b32 exec_lo, exec_lo, s6
.LBB6_7:
	s_delay_alu instid0(SALU_CYCLE_1)
	s_or_b32 exec_lo, exec_lo, s5
	s_clause 0x2
	s_load_b32 s6, s[0:1], 0x20
	s_load_b256 s[16:23], s[0:1], 0x28
	s_load_b128 s[24:27], s[0:1], 0x10
	v_cndmask_b32_e64 v2, 0, 0x1800, s3
	s_delay_alu instid0(VALU_DEP_1)
	v_cndmask_b32_e64 v9, v2, 0x1000, s4
	s_waitcnt lgkmcnt(0)
	s_ashr_i32 s7, s6, 31
	s_mul_i32 s5, s15, s17
	s_mul_hi_u32 s12, s15, s16
	s_lshl_b64 s[10:11], s[6:7], 5
	s_add_i32 s5, s12, s5
	s_add_u32 s10, s10, 32
	s_addc_u32 s11, s11, 0
	s_mul_i32 s4, s15, s16
	s_mul_i32 s13, s29, s19
	s_mul_hi_u32 s16, s29, s18
	s_mul_hi_u32 s12, s10, s30
	s_mul_i32 s11, s11, s30
	s_add_i32 s13, s16, s13
	s_mul_i32 s10, s10, s30
	s_add_i32 s11, s12, s11
	s_mul_i32 s12, s29, s18
	s_and_saveexec_b32 s16, vcc_lo
	s_delay_alu instid0(SALU_CYCLE_1)
	s_xor_b32 s18, exec_lo, s16
	s_cbranch_execz .LBB6_17
; %bb.8:
	s_mul_i32 s16, s14, 3
	s_mov_b32 s19, exec_lo
	v_cmpx_gt_u32_e64 s16, v0
	s_cbranch_execz .LBB6_16
; %bb.9:
	s_cmpk_eq_i32 s8, 0x7a
	s_mov_b32 s16, -1
	s_cbranch_scc1 .LBB6_13
; %bb.10:
	s_add_i32 s34, s14, -1
	s_lshl_b32 s33, s14, 3
	s_mul_i32 s17, s14, s34
	s_lshl_b64 s[36:37], s[12:13], 3
	s_lshl_b64 s[38:39], s[4:5], 3
	s_add_i32 s16, s14, 1
	s_lshl_b32 s31, s17, 3
	s_sub_i32 s17, 0, s33
	s_add_u32 s38, s36, s38
	s_addc_u32 s39, s37, s39
	s_lshl_b64 s[36:37], s[10:11], 3
	s_mov_b32 s35, 0
	v_lshlrev_b32_e32 v3, 3, v1
	s_add_u32 s36, s38, s36
	s_addc_u32 s37, s39, s37
	s_lshl_b64 s[34:35], s[34:35], 3
	v_ashrrev_i32_e32 v2, 31, v1
	s_add_u32 s33, s33, s34
	v_add3_u32 v4, s31, v3, v9
	s_mul_i32 s31, s33, s7
	s_mul_hi_u32 s34, s33, s6
	s_addc_u32 s35, 0, s35
	s_add_i32 s31, s34, s31
	s_mul_i32 s35, s35, s6
	s_mul_i32 s33, s33, s6
	s_add_i32 s31, s31, s35
	s_add_u32 s33, s36, s33
	s_addc_u32 s31, s37, s31
	s_lshl_b64 s[34:35], s[26:27], 3
	v_lshlrev_b64 v[2:3], 3, v[1:2]
	s_add_u32 s33, s33, s34
	s_addc_u32 s31, s31, s35
	s_add_u32 s33, s24, s33
	s_addc_u32 s31, s25, s31
	s_lshl_b64 s[34:35], s[6:7], 3
	v_add_co_u32 v2, vcc_lo, s33, v2
	v_add_co_ci_u32_e32 v3, vcc_lo, s31, v3, vcc_lo
	s_sub_u32 s31, 0, s34
	s_subb_u32 s33, 0, s35
.LBB6_11:                               ; =>This Inner Loop Header: Depth=1
	global_load_b64 v[5:6], v[2:3], off
	v_add_co_u32 v2, vcc_lo, v2, s31
	v_add_co_ci_u32_e32 v3, vcc_lo, s33, v3, vcc_lo
	s_add_i32 s16, s16, -1
	s_delay_alu instid0(SALU_CYCLE_1)
	s_cmp_gt_u32 s16, 1
	s_waitcnt vmcnt(0)
	ds_store_b64 v4, v[5:6]
	v_add_nc_u32_e32 v4, s17, v4
	s_cbranch_scc1 .LBB6_11
; %bb.12:
	s_mov_b32 s16, 0
.LBB6_13:
	s_delay_alu instid0(SALU_CYCLE_1)
	s_and_b32 vcc_lo, exec_lo, s16
	s_cbranch_vccz .LBB6_16
; %bb.14:
	v_add_nc_u32_e32 v2, s14, v1
	s_lshl_b64 s[16:17], s[4:5], 3
	v_lshl_add_u32 v4, v1, 3, v9
	s_add_u32 s31, s24, s16
	s_addc_u32 s33, s25, s17
	v_ashrrev_i32_e32 v3, 31, v2
	s_lshl_b64 s[16:17], s[26:27], 3
	s_delay_alu instid0(SALU_CYCLE_1)
	s_add_u32 s31, s31, s16
	s_addc_u32 s33, s33, s17
	s_lshl_b64 s[16:17], s[10:11], 3
	v_lshlrev_b64 v[2:3], 3, v[2:3]
	s_add_u32 s31, s31, s16
	s_addc_u32 s33, s33, s17
	s_lshl_b64 s[16:17], s[12:13], 3
	s_delay_alu instid0(SALU_CYCLE_1)
	s_add_u32 s16, s31, s16
	s_addc_u32 s17, s33, s17
	v_add_co_u32 v2, vcc_lo, s16, v2
	v_add_co_ci_u32_e32 v3, vcc_lo, s17, v3, vcc_lo
	s_lshl_b32 s31, s14, 3
	s_lshl_b64 s[16:17], s[6:7], 3
	s_mov_b32 s33, s14
.LBB6_15:                               ; =>This Inner Loop Header: Depth=1
	global_load_b64 v[5:6], v[2:3], off
	v_add_co_u32 v2, vcc_lo, v2, s16
	v_add_co_ci_u32_e32 v3, vcc_lo, s17, v3, vcc_lo
	s_add_i32 s33, s33, -1
	s_delay_alu instid0(SALU_CYCLE_1)
	s_cmp_eq_u32 s33, 0
	s_waitcnt vmcnt(0)
	ds_store_b64 v4, v[5:6]
	v_add_nc_u32_e32 v4, s31, v4
	s_cbranch_scc0 .LBB6_15
.LBB6_16:
	s_or_b32 exec_lo, exec_lo, s19
.LBB6_17:
	s_and_not1_saveexec_b32 s16, s18
	s_cbranch_execz .LBB6_31
; %bb.18:
	v_mov_b32_e32 v2, 0
	v_mov_b32_e32 v3, 0
	s_and_saveexec_b32 s17, s2
; %bb.19:
	s_add_u32 s18, s6, 1
	s_addc_u32 s19, s7, 0
	s_mul_hi_u32 s31, s18, s14
	s_mul_i32 s19, s19, s14
	s_mul_i32 s18, s18, s14
	s_add_i32 s19, s31, s19
	s_delay_alu instid0(SALU_CYCLE_1)
	v_dual_mov_b32 v2, s18 :: v_dual_mov_b32 v3, s19
; %bb.20:
	s_or_b32 exec_lo, exec_lo, s17
	s_delay_alu instid0(VALU_DEP_1)
	v_lshlrev_b64 v[3:4], 3, v[2:3]
	s_cmpk_lg_i32 s8, 0x7a
	s_mov_b32 s17, -1
	s_cbranch_scc0 .LBB6_26
; %bb.21:
	s_lshl_b64 s[34:35], s[12:13], 3
	s_lshl_b64 s[36:37], s[4:5], 3
	s_add_i32 s17, s14, -1
	s_lshl_b32 s18, s14, 3
	s_add_u32 s19, s34, s36
	s_addc_u32 s31, s35, s37
	s_lshl_b64 s[34:35], s[10:11], 3
	s_mul_i32 s33, s7, s17
	s_add_u32 s19, s19, s34
	s_mul_hi_u32 s34, s6, s17
	s_addc_u32 s31, s31, s35
	s_add_i32 s35, s34, s33
	s_mul_i32 s34, s6, s17
	v_ashrrev_i32_e32 v2, 31, v1
	s_lshl_b64 s[34:35], s[34:35], 3
	v_sub_nc_u32_e32 v8, s17, v1
	s_add_u32 s19, s19, s34
	s_addc_u32 s31, s31, s35
	s_lshl_b64 s[34:35], s[26:27], 3
	v_lshlrev_b64 v[5:6], 3, v[1:2]
	s_add_u32 s19, s34, s19
	s_addc_u32 s31, s35, s31
	v_add_co_u32 v2, vcc_lo, s19, v3
	v_add_co_ci_u32_e32 v7, vcc_lo, s31, v4, vcc_lo
	s_lshl_b64 s[34:35], s[6:7], 3
	s_delay_alu instid0(VALU_DEP_2) | instskip(NEXT) | instid1(VALU_DEP_2)
	v_add_co_u32 v5, vcc_lo, v2, v5
	v_add_co_ci_u32_e32 v6, vcc_lo, v7, v6, vcc_lo
	v_lshl_add_u32 v2, v8, 3, v9
	s_delay_alu instid0(VALU_DEP_3) | instskip(NEXT) | instid1(VALU_DEP_3)
	v_add_co_u32 v5, vcc_lo, s24, v5
	v_add_co_ci_u32_e32 v6, vcc_lo, s25, v6, vcc_lo
	s_sub_u32 s19, 0, s34
	s_subb_u32 s31, 0, s35
	s_branch .LBB6_23
	.p2align	6
.LBB6_22:                               ;   in Loop: Header=BB6_23 Depth=1
	s_or_b32 exec_lo, exec_lo, s33
	v_add_co_u32 v5, vcc_lo, v5, s19
	s_waitcnt vmcnt(0)
	ds_store_b64 v2, v[7:8]
	v_add_nc_u32_e32 v2, s18, v2
	v_add_co_ci_u32_e32 v6, vcc_lo, s31, v6, vcc_lo
	s_add_i32 s17, s17, -1
	s_delay_alu instid0(SALU_CYCLE_1)
	s_cmp_eq_u32 s17, -1
	s_cbranch_scc1 .LBB6_25
.LBB6_23:                               ; =>This Inner Loop Header: Depth=1
	v_mov_b32_e32 v7, 0
	v_mov_b32_e32 v8, 0
	s_mov_b32 s33, exec_lo
	v_cmpx_ge_i32_e64 s17, v1
	s_cbranch_execz .LBB6_22
; %bb.24:                               ;   in Loop: Header=BB6_23 Depth=1
	global_load_b64 v[7:8], v[5:6], off
	s_branch .LBB6_22
.LBB6_25:
	s_mov_b32 s17, 0
.LBB6_26:
	s_delay_alu instid0(SALU_CYCLE_1)
	s_and_b32 vcc_lo, exec_lo, s17
	s_cbranch_vccz .LBB6_31
; %bb.27:
	s_lshl_b64 s[18:19], s[12:13], 3
	s_lshl_b64 s[4:5], s[4:5], 3
	s_lshl_b32 s12, s14, 3
	s_add_u32 s13, s18, s4
	s_addc_u32 s17, s19, s5
	s_lshl_b64 s[4:5], s[10:11], 3
	v_ashrrev_i32_e32 v2, 31, v1
	s_add_u32 s10, s13, s4
	s_addc_u32 s11, s17, s5
	s_lshl_b64 s[4:5], s[26:27], 3
	s_delay_alu instid0(SALU_CYCLE_1)
	s_add_u32 s4, s4, s10
	v_lshlrev_b64 v[5:6], 3, v[1:2]
	s_addc_u32 s5, s5, s11
	v_add_co_u32 v2, vcc_lo, s4, v3
	v_add_co_ci_u32_e32 v3, vcc_lo, s5, v4, vcc_lo
	s_lshl_b64 s[4:5], s[6:7], 3
	s_delay_alu instid0(VALU_DEP_2) | instskip(NEXT) | instid1(VALU_DEP_2)
	v_add_co_u32 v2, vcc_lo, v2, v5
	v_add_co_ci_u32_e32 v3, vcc_lo, v3, v6, vcc_lo
	v_lshl_add_u32 v6, v1, 3, v9
	s_delay_alu instid0(VALU_DEP_3) | instskip(NEXT) | instid1(VALU_DEP_3)
	v_add_co_u32 v2, vcc_lo, s24, v2
	v_add_co_ci_u32_e32 v3, vcc_lo, s25, v3, vcc_lo
	s_mov_b32 s6, 0
	s_branch .LBB6_29
	.p2align	6
.LBB6_28:                               ;   in Loop: Header=BB6_29 Depth=1
	s_or_b32 exec_lo, exec_lo, s7
	v_add_co_u32 v2, vcc_lo, v2, s4
	s_waitcnt vmcnt(0)
	ds_store_b64 v6, v[4:5]
	v_add_nc_u32_e32 v6, s12, v6
	v_add_co_ci_u32_e32 v3, vcc_lo, s5, v3, vcc_lo
	s_add_i32 s6, s6, 1
	s_delay_alu instid0(SALU_CYCLE_1)
	s_cmp_eq_u32 s14, s6
	s_cbranch_scc1 .LBB6_31
.LBB6_29:                               ; =>This Inner Loop Header: Depth=1
	v_mov_b32_e32 v4, 0
	v_mov_b32_e32 v5, 0
	s_mov_b32 s7, exec_lo
	v_cmpx_le_i32_e64 s6, v1
	s_cbranch_execz .LBB6_28
; %bb.30:                               ;   in Loop: Header=BB6_29 Depth=1
	global_load_b64 v[4:5], v[2:3], off
	s_branch .LBB6_28
.LBB6_31:
	s_or_b32 exec_lo, exec_lo, s16
	s_waitcnt lgkmcnt(0)
	s_barrier
	buffer_gl0_inv
	s_and_saveexec_b32 s4, s3
	s_cbranch_execz .LBB6_37
; %bb.32:
	s_add_i32 s5, s14, 1
	v_mov_b32_e32 v2, 0
	v_mul_i32_i24_e32 v4, s5, v1
	v_mov_b32_e32 v3, 0x3ff00000
	s_cmpk_eq_i32 s9, 0x84
	s_delay_alu instid0(VALU_DEP_2)
	v_lshl_add_u32 v6, v4, 3, v9
	s_cbranch_scc1 .LBB6_36
; %bb.33:
	ds_load_b64 v[4:5], v6
	v_mov_b32_e32 v2, 0
	v_mov_b32_e32 v3, 0x3ff00000
	s_mov_b32 s5, exec_lo
	s_waitcnt lgkmcnt(0)
	v_cmpx_neq_f64_e32 0, v[4:5]
; %bb.34:
	v_div_scale_f64 v[2:3], null, v[4:5], v[4:5], 1.0
	s_delay_alu instid0(VALU_DEP_1) | instskip(SKIP_2) | instid1(VALU_DEP_1)
	v_rcp_f64_e32 v[7:8], v[2:3]
	s_waitcnt_depctr 0xfff
	v_fma_f64 v[10:11], -v[2:3], v[7:8], 1.0
	v_fma_f64 v[7:8], v[7:8], v[10:11], v[7:8]
	s_delay_alu instid0(VALU_DEP_1) | instskip(NEXT) | instid1(VALU_DEP_1)
	v_fma_f64 v[10:11], -v[2:3], v[7:8], 1.0
	v_fma_f64 v[7:8], v[7:8], v[10:11], v[7:8]
	v_div_scale_f64 v[10:11], vcc_lo, 1.0, v[4:5], 1.0
	s_delay_alu instid0(VALU_DEP_1) | instskip(NEXT) | instid1(VALU_DEP_1)
	v_mul_f64 v[12:13], v[10:11], v[7:8]
	v_fma_f64 v[2:3], -v[2:3], v[12:13], v[10:11]
	s_delay_alu instid0(VALU_DEP_1) | instskip(NEXT) | instid1(VALU_DEP_1)
	v_div_fmas_f64 v[2:3], v[2:3], v[7:8], v[12:13]
	v_div_fixup_f64 v[2:3], v[2:3], v[4:5], 1.0
; %bb.35:
	s_or_b32 exec_lo, exec_lo, s5
.LBB6_36:
	ds_store_b64 v6, v[2:3]
.LBB6_37:
	s_or_b32 exec_lo, exec_lo, s4
	s_waitcnt lgkmcnt(0)
	s_barrier
	buffer_gl0_inv
	s_and_saveexec_b32 s4, s3
	s_cbranch_execz .LBB6_49
; %bb.38:
	s_add_i32 s5, s14, 1
	v_lshlrev_b32_e32 v2, 3, v1
	v_mul_i32_i24_e32 v3, s5, v1
	s_lshl_b32 s5, s14, 3
	v_add_nc_u32_e32 v4, 8, v9
	s_add_i32 s6, s5, 8
	v_add_nc_u32_e32 v5, v9, v2
	v_lshl_add_u32 v6, v3, 3, v9
	v_add3_u32 v7, v2, s5, v9
	s_mov_b32 s7, 0
	s_branch .LBB6_40
.LBB6_39:                               ;   in Loop: Header=BB6_40 Depth=1
	s_set_inst_prefetch_distance 0x2
	v_add_nc_u32_e32 v4, s6, v4
	v_add_nc_u32_e32 v7, s5, v7
	s_cmp_eq_u32 s7, s14
	s_cbranch_scc1 .LBB6_49
.LBB6_40:                               ; =>This Loop Header: Depth=1
                                        ;     Child Loop BB6_45 Depth 2
	v_mov_b32_e32 v2, 0
	v_mov_b32_e32 v3, 0
	s_mul_i32 s9, s7, s14
	s_mov_b32 s10, exec_lo
	v_cmpx_lt_i32_e64 s7, v1
	s_cbranch_execz .LBB6_42
; %bb.41:                               ;   in Loop: Header=BB6_40 Depth=1
	s_lshl_b32 s11, s9, 3
	s_lshl_b32 s12, s7, 3
	v_add_nc_u32_e32 v2, s11, v5
	v_add3_u32 v8, s11, s12, v9
	ds_load_b64 v[2:3], v2
	ds_load_b64 v[10:11], v8
	s_waitcnt lgkmcnt(0)
	v_fma_f64 v[2:3], v[2:3], v[10:11], 0
.LBB6_42:                               ;   in Loop: Header=BB6_40 Depth=1
	s_or_b32 exec_lo, exec_lo, s10
	s_add_i32 s7, s7, 1
	s_delay_alu instid0(SALU_CYCLE_1)
	s_cmp_ge_u32 s7, s14
	s_cbranch_scc1 .LBB6_39
; %bb.43:                               ;   in Loop: Header=BB6_40 Depth=1
	v_lshl_add_u32 v8, s9, 3, v5
	v_dual_mov_b32 v10, v7 :: v_dual_mov_b32 v11, v4
	s_mov_b32 s9, s7
	s_set_inst_prefetch_distance 0x1
	s_branch .LBB6_45
	.p2align	6
.LBB6_44:                               ;   in Loop: Header=BB6_45 Depth=2
	s_or_b32 exec_lo, exec_lo, s10
	v_add_nc_u32_e32 v11, 8, v11
	v_add_nc_u32_e32 v10, s5, v10
	s_add_i32 s9, s9, 1
	s_delay_alu instid0(SALU_CYCLE_1)
	s_cmp_ge_u32 s9, s14
	s_cbranch_scc1 .LBB6_39
.LBB6_45:                               ;   Parent Loop BB6_40 Depth=1
                                        ; =>  This Inner Loop Header: Depth=2
	s_mov_b32 s10, exec_lo
	v_cmpx_eq_u32_e64 s9, v1
	s_cbranch_execz .LBB6_47
; %bb.46:                               ;   in Loop: Header=BB6_45 Depth=2
	s_delay_alu instid0(VALU_DEP_4)
	v_add_f64 v[12:13], -v[2:3], 0
	ds_load_b64 v[14:15], v6
	s_waitcnt lgkmcnt(0)
	v_mul_f64 v[12:13], v[12:13], v[14:15]
	ds_store_b64 v8, v[12:13]
.LBB6_47:                               ;   in Loop: Header=BB6_45 Depth=2
	s_or_b32 exec_lo, exec_lo, s10
	s_delay_alu instid0(SALU_CYCLE_1)
	s_mov_b32 s10, exec_lo
	v_cmpx_lt_i32_e64 s9, v1
	s_cbranch_execz .LBB6_44
; %bb.48:                               ;   in Loop: Header=BB6_45 Depth=2
	ds_load_b64 v[12:13], v10
	ds_load_b64 v[14:15], v11
	s_waitcnt lgkmcnt(0)
	v_fma_f64 v[2:3], v[12:13], v[14:15], v[2:3]
	s_branch .LBB6_44
.LBB6_49:
	s_or_b32 exec_lo, exec_lo, s4
	s_and_b32 s4, s14, 0xffff
	v_cvt_f32_ubyte0_e32 v4, v0
	v_cvt_f32_u32_e32 v2, s4
	s_mul_i32 s4, s14, s14
	s_cmpk_lg_i32 s8, 0x7a
	v_cmp_gt_u32_e64 s4, s4, v0
	s_cselect_b32 s5, -1, 0
	v_rcp_iflag_f32_e32 v3, v2
	s_mov_b32 s9, 0
	s_waitcnt lgkmcnt(0)
	s_barrier
	buffer_gl0_inv
	v_mul_f32_e32 v3, v4, v3
	s_delay_alu instid0(VALU_DEP_1) | instskip(NEXT) | instid1(VALU_DEP_1)
	v_trunc_f32_e32 v3, v3
	v_fma_f32 v4, -v3, v2, v4
	v_cvt_u32_f32_e32 v3, v3
	s_delay_alu instid0(VALU_DEP_2) | instskip(NEXT) | instid1(VALU_DEP_2)
	v_cmp_ge_f32_e64 vcc_lo, |v4|, v2
	v_add_co_ci_u32_e32 v2, vcc_lo, 0, v3, vcc_lo
	s_and_b32 vcc_lo, exec_lo, s5
	s_delay_alu instid0(VALU_DEP_1) | instskip(SKIP_1) | instid1(VALU_DEP_2)
	v_mul_lo_u16 v3, v2, s14
	v_and_b32_e32 v11, 0xffff, v2
	v_sub_nc_u16 v3, v0, v3
	s_delay_alu instid0(VALU_DEP_1)
	v_and_b32_e32 v10, 0xffff, v3
	s_cbranch_vccz .LBB6_61
; %bb.50:
	s_mov_b32 s6, 0
                                        ; implicit-def: $vgpr2_vgpr3
                                        ; implicit-def: $vgpr0
	s_and_saveexec_b32 s7, s4
	s_cbranch_execz .LBB6_60
; %bb.51:
	v_dual_mov_b32 v2, 0 :: v_dual_add_nc_u32 v5, 1, v11
	v_dual_mov_b32 v3, 0 :: v_dual_mov_b32 v0, 0
	v_lshlrev_b32_e32 v4, 7, v11
	s_mov_b32 s8, exec_lo
	v_cmpx_lt_u16_e32 6, v11
	s_cbranch_execz .LBB6_55
; %bb.52:
	v_mov_b32_e32 v2, 0
	v_dual_mov_b32 v3, 0 :: v_dual_and_b32 v0, 0x7f8, v5
	v_lshlrev_b32_e32 v6, 3, v10
	v_sub_nc_u32_e32 v7, 0x1fc0, v4
	s_mov_b32 s10, 0
	s_set_inst_prefetch_distance 0x1
	.p2align	6
.LBB6_53:                               ; =>This Inner Loop Header: Depth=1
	ds_load_2addr_b64 v[12:15], v6 offset1:16
	ds_load_b128 v[16:19], v7 offset:48
	ds_load_b128 v[20:23], v7 offset:32
	s_add_i32 s10, s10, 8
	s_delay_alu instid0(SALU_CYCLE_1) | instskip(SKIP_3) | instid1(VALU_DEP_1)
	v_cmp_eq_u32_e32 vcc_lo, s10, v0
	s_or_b32 s9, vcc_lo, s9
	s_waitcnt lgkmcnt(1)
	v_fma_f64 v[2:3], v[12:13], v[18:19], v[2:3]
	v_fma_f64 v[2:3], v[14:15], v[16:17], v[2:3]
	ds_load_2addr_b64 v[12:15], v6 offset0:32 offset1:48
	s_waitcnt lgkmcnt(0)
	v_fma_f64 v[2:3], v[12:13], v[22:23], v[2:3]
	s_delay_alu instid0(VALU_DEP_1)
	v_fma_f64 v[2:3], v[14:15], v[20:21], v[2:3]
	ds_load_b128 v[12:15], v7 offset:16
	ds_load_2addr_b64 v[16:19], v6 offset0:64 offset1:80
	ds_load_b128 v[20:23], v7
	v_subrev_nc_u32_e32 v7, 64, v7
	s_waitcnt lgkmcnt(1)
	v_fma_f64 v[2:3], v[16:17], v[14:15], v[2:3]
	s_delay_alu instid0(VALU_DEP_1) | instskip(SKIP_4) | instid1(VALU_DEP_1)
	v_fma_f64 v[2:3], v[18:19], v[12:13], v[2:3]
	ds_load_2addr_b64 v[12:15], v6 offset0:96 offset1:112
	v_add_nc_u32_e32 v6, 0x400, v6
	s_waitcnt lgkmcnt(0)
	v_fma_f64 v[2:3], v[12:13], v[22:23], v[2:3]
	v_fma_f64 v[2:3], v[14:15], v[20:21], v[2:3]
	s_and_not1_b32 exec_lo, exec_lo, s9
	s_cbranch_execnz .LBB6_53
; %bb.54:
	s_set_inst_prefetch_distance 0x2
	s_or_b32 exec_lo, exec_lo, s9
.LBB6_55:
	s_delay_alu instid0(SALU_CYCLE_1) | instskip(SKIP_3) | instid1(VALU_DEP_1)
	s_or_b32 exec_lo, exec_lo, s8
	v_and_b32_e32 v5, 7, v5
	s_mov_b32 s9, 0
	s_mov_b32 s8, exec_lo
	v_cmpx_ne_u32_e32 0, v5
	s_cbranch_execz .LBB6_59
; %bb.56:
	v_lshl_add_u32 v4, v0, 3, v4
	v_lshlrev_b32_e32 v6, 3, v10
	s_delay_alu instid0(VALU_DEP_2) | instskip(NEXT) | instid1(VALU_DEP_2)
	v_sub_nc_u32_e32 v4, 0x1ff8, v4
	v_lshl_add_u32 v0, v0, 7, v6
.LBB6_57:                               ; =>This Inner Loop Header: Depth=1
	ds_load_b64 v[6:7], v0
	ds_load_b64 v[12:13], v4
	v_add_nc_u32_e32 v5, -1, v5
	v_add_nc_u32_e32 v4, -8, v4
	v_add_nc_u32_e32 v0, 0x80, v0
	s_delay_alu instid0(VALU_DEP_3)
	v_cmp_eq_u32_e32 vcc_lo, 0, v5
	s_or_b32 s9, vcc_lo, s9
	s_waitcnt lgkmcnt(0)
	v_fma_f64 v[2:3], v[6:7], v[12:13], v[2:3]
	s_and_not1_b32 exec_lo, exec_lo, s9
	s_cbranch_execnz .LBB6_57
; %bb.58:
	s_or_b32 exec_lo, exec_lo, s9
.LBB6_59:
	s_delay_alu instid0(SALU_CYCLE_1) | instskip(NEXT) | instid1(SALU_CYCLE_1)
	s_or_b32 exec_lo, exec_lo, s8
	s_mov_b32 s9, exec_lo
	v_lshlrev_b32_e32 v0, 4, v11
.LBB6_60:
	s_or_b32 exec_lo, exec_lo, s7
	s_delay_alu instid0(SALU_CYCLE_1)
	s_and_b32 vcc_lo, exec_lo, s6
	s_cbranch_vccnz .LBB6_62
	s_branch .LBB6_69
.LBB6_61:
                                        ; implicit-def: $vgpr2_vgpr3
                                        ; implicit-def: $vgpr0
	s_cbranch_execz .LBB6_69
.LBB6_62:
                                        ; implicit-def: $vgpr2_vgpr3
                                        ; implicit-def: $vgpr0
	s_and_saveexec_b32 s6, s4
	s_cbranch_execz .LBB6_68
; %bb.63:
	v_mov_b32_e32 v2, 0
	v_mov_b32_e32 v3, 0
	s_mov_b32 s7, exec_lo
	v_cmpx_gt_u16_e32 16, v11
	s_cbranch_execz .LBB6_67
; %bb.64:
	v_lshlrev_b32_e32 v4, 3, v10
	s_movk_i32 s8, 0x88
	v_mov_b32_e32 v2, 0
	v_dual_mov_b32 v3, 0 :: v_dual_add_nc_u32 v0, -1, v11
	s_delay_alu instid0(VALU_DEP_3)
	v_lshl_add_u32 v4, v11, 7, v4
	v_mad_u32_u24 v5, v11, s8, 0x1000
	s_mov_b32 s8, 0
.LBB6_65:                               ; =>This Inner Loop Header: Depth=1
	ds_load_b64 v[6:7], v4
	ds_load_b64 v[12:13], v5
	v_add_nc_u32_e32 v0, 1, v0
	v_add_nc_u32_e32 v4, 0x80, v4
	;; [unrolled: 1-line block ×3, first 2 shown]
	s_delay_alu instid0(VALU_DEP_3)
	v_cmp_lt_u32_e32 vcc_lo, 14, v0
	s_or_b32 s8, vcc_lo, s8
	s_waitcnt lgkmcnt(0)
	v_fma_f64 v[2:3], v[6:7], v[12:13], v[2:3]
	s_and_not1_b32 exec_lo, exec_lo, s8
	s_cbranch_execnz .LBB6_65
; %bb.66:
	s_or_b32 exec_lo, exec_lo, s8
.LBB6_67:
	s_delay_alu instid0(SALU_CYCLE_1)
	s_or_b32 exec_lo, exec_lo, s7
	v_lshlrev_b32_e32 v0, 4, v11
	s_or_b32 s9, s9, exec_lo
.LBB6_68:
	s_or_b32 exec_lo, exec_lo, s6
.LBB6_69:
	s_and_saveexec_b32 s6, s9
	s_cbranch_execz .LBB6_71
; %bb.70:
	v_add_lshl_u32 v0, v0, v10, 3
	ds_store_b64 v0, v[2:3] offset:2048
.LBB6_71:
	s_or_b32 exec_lo, exec_lo, s6
	s_clause 0x1
	s_load_b128 s[8:11], s[0:1], 0x50
	s_load_b32 s6, s[0:1], 0x48
	s_waitcnt lgkmcnt(0)
	s_barrier
	buffer_gl0_inv
	s_mul_i32 s1, s15, s9
	s_mul_hi_u32 s7, s15, s8
	s_mul_i32 s0, s15, s8
	s_add_i32 s1, s7, s1
	s_ashr_i32 s7, s6, 31
	s_lshl_b64 s[8:9], s[0:1], 3
	s_mul_i32 s11, s29, s11
	s_add_u32 s12, s20, s8
	s_addc_u32 s13, s21, s9
	s_lshl_b64 s[0:1], s[22:23], 3
	s_delay_alu instid0(SALU_CYCLE_1) | instskip(SKIP_2) | instid1(SALU_CYCLE_1)
	s_add_u32 s15, s12, s0
	s_addc_u32 s16, s13, s1
	s_lshl_b64 s[12:13], s[6:7], 5
	s_add_u32 s12, s12, 32
	s_addc_u32 s13, s13, 0
	s_mul_hi_u32 s17, s12, s30
	s_mul_i32 s13, s13, s30
	s_mul_i32 s12, s12, s30
	s_add_i32 s13, s17, s13
	s_mul_hi_u32 s17, s29, s10
	s_lshl_b64 s[12:13], s[12:13], 3
	s_mul_i32 s10, s29, s10
	s_add_u32 s15, s15, s12
	s_addc_u32 s16, s16, s13
	s_add_i32 s11, s17, s11
	s_mov_b32 s17, -1
	s_lshl_b64 s[10:11], s[10:11], 3
	s_delay_alu instid0(SALU_CYCLE_1)
	s_add_u32 s15, s15, s10
	s_addc_u32 s16, s16, s11
	s_and_b32 vcc_lo, exec_lo, s5
	s_cbranch_vccnz .LBB6_74
; %bb.72:
	s_and_not1_b32 vcc_lo, exec_lo, s17
	s_cbranch_vccz .LBB6_79
.LBB6_73:
	s_and_saveexec_b32 s4, s3
	s_cbranch_execnz .LBB6_90
	s_branch .LBB6_101
.LBB6_74:
	s_and_saveexec_b32 s17, s4
	s_cbranch_execz .LBB6_78
; %bb.75:
	v_sub_nc_u32_e32 v0, s14, v10
	v_mad_u32_u24 v3, s14, v11, v10
	v_add_nc_u32_e32 v4, -1, v10
	s_lshl_b32 s19, s14, 3
	s_mov_b32 s18, 0
	v_mul_i32_i24_e32 v0, s14, v0
	v_lshl_add_u32 v5, v3, 3, 0x800
	s_sub_i32 s19, 0, s19
	s_delay_alu instid0(VALU_DEP_2) | instskip(SKIP_1) | instid1(VALU_DEP_1)
	v_lshlrev_b32_e32 v2, 3, v0
	v_lshlrev_b32_e32 v0, 3, v10
	v_sub_nc_u32_e32 v6, v2, v0
	v_mov_b32_e32 v2, 0
	s_delay_alu instid0(VALU_DEP_2)
	v_dual_mov_b32 v3, 0 :: v_dual_add_nc_u32 v6, 0xff8, v6
.LBB6_76:                               ; =>This Inner Loop Header: Depth=1
	ds_load_b64 v[7:8], v6
	ds_load_b64 v[12:13], v5
	v_add_nc_u32_e32 v4, 1, v4
	v_add_nc_u32_e32 v5, 8, v5
	;; [unrolled: 1-line block ×3, first 2 shown]
	s_delay_alu instid0(VALU_DEP_3)
	v_cmp_lt_u32_e32 vcc_lo, 14, v4
	s_or_b32 s18, vcc_lo, s18
	s_waitcnt lgkmcnt(0)
	v_fma_f64 v[2:3], -v[7:8], v[12:13], v[2:3]
	s_and_not1_b32 exec_lo, exec_lo, s18
	s_cbranch_execnz .LBB6_76
; %bb.77:
	s_or_b32 exec_lo, exec_lo, s18
	v_mad_i64_i32 v[4:5], null, v11, s6, 0
	s_mul_hi_i32 s19, s14, s6
	s_mul_i32 s18, s14, s6
	s_delay_alu instid0(SALU_CYCLE_1) | instskip(NEXT) | instid1(SALU_CYCLE_1)
	s_lshl_b64 s[18:19], s[18:19], 3
	s_add_u32 s18, s15, s18
	s_delay_alu instid0(VALU_DEP_1) | instskip(SKIP_2) | instid1(VALU_DEP_1)
	v_lshlrev_b64 v[4:5], 3, v[4:5]
	s_addc_u32 s19, s16, s19
	v_add_co_u32 v0, s18, s18, v0
	v_add_co_ci_u32_e64 v6, null, s19, 0, s18
	s_delay_alu instid0(VALU_DEP_2) | instskip(NEXT) | instid1(VALU_DEP_2)
	v_add_co_u32 v4, vcc_lo, v0, v4
	v_add_co_ci_u32_e32 v5, vcc_lo, v6, v5, vcc_lo
	global_store_b64 v[4:5], v[2:3], off
.LBB6_78:
	s_or_b32 exec_lo, exec_lo, s17
	s_cbranch_execnz .LBB6_73
.LBB6_79:
	s_and_saveexec_b32 s17, s4
	s_cbranch_execz .LBB6_89
; %bb.80:
	v_dual_mov_b32 v2, 0 :: v_dual_mov_b32 v13, 0
	v_mul_u32_u24_e32 v12, s14, v11
	v_dual_mov_b32 v3, 0 :: v_dual_add_nc_u32 v14, 1, v10
	s_mov_b32 s4, exec_lo
	v_cmpx_lt_u16_e32 6, v10
	s_cbranch_execz .LBB6_84
; %bb.81:
	v_lshl_add_u32 v0, v10, 3, 0x1800
	v_dual_mov_b32 v2, 0 :: v_dual_and_b32 v13, 56, v14
	v_lshl_add_u32 v15, v12, 3, 0x800
	v_mov_b32_e32 v3, 0
	s_delay_alu instid0(VALU_DEP_4)
	v_mad_u64_u32 v[4:5], null, s14, 24, v[0:1]
	v_mad_u64_u32 v[5:6], null, s14, 40, v[0:1]
	;; [unrolled: 1-line block ×4, first 2 shown]
	v_lshl_add_u32 v16, s14, 3, v0
	v_lshl_add_u32 v8, s14, 4, v0
	v_lshl_add_u32 v17, s14, 5, v0
	s_lshl_b32 s19, s14, 6
	s_mov_b32 s18, 0
	s_mov_b32 s22, 0
.LBB6_82:                               ; =>This Inner Loop Header: Depth=1
	ds_load_b64 v[26:27], v0
	ds_load_2addr_b64 v[18:21], v15 offset1:1
	ds_load_2addr_b64 v[22:25], v15 offset0:2 offset1:3
	ds_load_b64 v[28:29], v16
	ds_load_b64 v[30:31], v8
	ds_load_b64 v[32:33], v17
	s_add_i32 s22, s22, 8
	v_add_nc_u32_e32 v16, s19, v16
	v_cmp_eq_u32_e32 vcc_lo, s22, v13
	v_add_nc_u32_e32 v8, s19, v8
	v_add_nc_u32_e32 v17, s19, v17
	;; [unrolled: 1-line block ×3, first 2 shown]
	s_or_b32 s18, vcc_lo, s18
	s_waitcnt lgkmcnt(4)
	v_fma_f64 v[2:3], -v[26:27], v[18:19], v[2:3]
	s_waitcnt lgkmcnt(2)
	s_delay_alu instid0(VALU_DEP_1) | instskip(SKIP_1) | instid1(VALU_DEP_1)
	v_fma_f64 v[2:3], -v[28:29], v[20:21], v[2:3]
	s_waitcnt lgkmcnt(1)
	v_fma_f64 v[2:3], -v[30:31], v[22:23], v[2:3]
	ds_load_b64 v[18:19], v4
	ds_load_b64 v[26:27], v5
	;; [unrolled: 1-line block ×4, first 2 shown]
	v_add_nc_u32_e32 v4, s19, v4
	v_add_nc_u32_e32 v5, s19, v5
	;; [unrolled: 1-line block ×4, first 2 shown]
	s_waitcnt lgkmcnt(3)
	v_fma_f64 v[2:3], -v[18:19], v[24:25], v[2:3]
	ds_load_2addr_b64 v[18:21], v15 offset0:4 offset1:5
	ds_load_2addr_b64 v[22:25], v15 offset0:6 offset1:7
	v_add_nc_u32_e32 v15, 64, v15
	s_waitcnt lgkmcnt(1)
	v_fma_f64 v[2:3], -v[32:33], v[18:19], v[2:3]
	s_delay_alu instid0(VALU_DEP_1) | instskip(SKIP_1) | instid1(VALU_DEP_1)
	v_fma_f64 v[2:3], -v[26:27], v[20:21], v[2:3]
	s_waitcnt lgkmcnt(0)
	v_fma_f64 v[2:3], -v[28:29], v[22:23], v[2:3]
	s_delay_alu instid0(VALU_DEP_1)
	v_fma_f64 v[2:3], -v[30:31], v[24:25], v[2:3]
	s_and_not1_b32 exec_lo, exec_lo, s18
	s_cbranch_execnz .LBB6_82
; %bb.83:
	s_or_b32 exec_lo, exec_lo, s18
.LBB6_84:
	s_delay_alu instid0(SALU_CYCLE_1) | instskip(SKIP_3) | instid1(VALU_DEP_1)
	s_or_b32 exec_lo, exec_lo, s4
	v_and_b32_e32 v0, 7, v14
	s_mov_b32 s18, 0
	s_mov_b32 s4, exec_lo
	v_cmpx_ne_u32_e32 0, v0
	s_cbranch_execz .LBB6_88
; %bb.85:
	v_add_nc_u32_e32 v4, v12, v13
	v_mad_u32_u24 v5, v13, s14, v10
	s_lshl_b32 s19, s14, 3
	s_delay_alu instid0(VALU_DEP_2) | instskip(NEXT) | instid1(VALU_DEP_2)
	v_lshl_add_u32 v4, v4, 3, 0x800
	v_lshl_add_u32 v5, v5, 3, 0x1800
.LBB6_86:                               ; =>This Inner Loop Header: Depth=1
	ds_load_b64 v[6:7], v5
	ds_load_b64 v[12:13], v4
	v_add_nc_u32_e32 v0, -1, v0
	v_add_nc_u32_e32 v4, 8, v4
	v_add_nc_u32_e32 v5, s19, v5
	s_delay_alu instid0(VALU_DEP_3)
	v_cmp_eq_u32_e32 vcc_lo, 0, v0
	s_or_b32 s18, vcc_lo, s18
	s_waitcnt lgkmcnt(0)
	v_fma_f64 v[2:3], -v[6:7], v[12:13], v[2:3]
	s_and_not1_b32 exec_lo, exec_lo, s18
	s_cbranch_execnz .LBB6_86
; %bb.87:
	s_or_b32 exec_lo, exec_lo, s18
.LBB6_88:
	s_delay_alu instid0(SALU_CYCLE_1) | instskip(SKIP_2) | instid1(VALU_DEP_2)
	s_or_b32 exec_lo, exec_lo, s4
	v_mad_i64_i32 v[4:5], null, v11, s6, 0
	v_add_lshl_u32 v0, s14, v10, 3
	v_lshlrev_b64 v[4:5], 3, v[4:5]
	s_delay_alu instid0(VALU_DEP_1) | instskip(NEXT) | instid1(VALU_DEP_2)
	v_add_co_u32 v4, vcc_lo, s15, v4
	v_add_co_ci_u32_e32 v5, vcc_lo, s16, v5, vcc_lo
	s_delay_alu instid0(VALU_DEP_2) | instskip(NEXT) | instid1(VALU_DEP_2)
	v_add_co_u32 v4, vcc_lo, v4, v0
	v_add_co_ci_u32_e32 v5, vcc_lo, 0, v5, vcc_lo
	global_store_b64 v[4:5], v[2:3], off
.LBB6_89:
	s_or_b32 exec_lo, exec_lo, s17
	s_and_saveexec_b32 s4, s3
	s_cbranch_execz .LBB6_101
.LBB6_90:
	v_mov_b32_e32 v3, 0
	v_mov_b32_e32 v4, 0
	s_and_saveexec_b32 s3, s2
	s_cbranch_execnz .LBB6_93
; %bb.91:
	s_or_b32 exec_lo, exec_lo, s3
	s_delay_alu instid0(SALU_CYCLE_1)
	s_and_b32 vcc_lo, exec_lo, s5
	s_mov_b32 s2, -1
	s_cbranch_vccnz .LBB6_94
.LBB6_92:
	s_and_not1_b32 vcc_lo, exec_lo, s2
	s_cbranch_vccz .LBB6_98
	s_branch .LBB6_101
.LBB6_93:
	s_add_u32 s2, s6, 1
	s_addc_u32 s4, s7, 0
	s_mul_hi_u32 s17, s2, s14
	s_mul_i32 s4, s4, s14
	s_mul_i32 s18, s2, s14
	s_add_i32 s19, s17, s4
	s_delay_alu instid0(SALU_CYCLE_1) | instskip(SKIP_1) | instid1(SALU_CYCLE_1)
	v_dual_mov_b32 v3, s18 :: v_dual_mov_b32 v4, s19
	s_or_b32 exec_lo, exec_lo, s3
	s_and_b32 vcc_lo, exec_lo, s5
	s_mov_b32 s2, -1
	s_cbranch_vccz .LBB6_92
.LBB6_94:
	s_mov_b32 s2, exec_lo
	v_cmpx_gt_i32_e64 s14, v1
	s_cbranch_execz .LBB6_97
; %bb.95:
	s_cmp_lt_u32 s28, 16
	v_ashrrev_i32_e32 v2, 31, v1
	s_cselect_b32 s3, s28, 16
	s_cselect_b32 s4, 0, 0
	s_add_u32 s3, s3, -1
	s_addc_u32 s4, s4, -1
	s_mul_i32 s5, s3, s7
	s_mul_hi_u32 s17, s3, s6
	s_mul_i32 s4, s4, s6
	s_add_i32 s5, s17, s5
	v_lshlrev_b64 v[5:6], 3, v[3:4]
	s_add_i32 s5, s5, s4
	s_mul_i32 s4, s3, s6
	v_lshlrev_b64 v[7:8], 3, v[1:2]
	s_lshl_b64 s[4:5], s[4:5], 3
	v_xad_u32 v0, v1, -1, s14
	s_add_u32 s3, s4, s10
	s_addc_u32 s4, s5, s11
	s_add_u32 s3, s3, s8
	s_addc_u32 s4, s4, s9
	;; [unrolled: 2-line block ×4, first 2 shown]
	v_add_co_u32 v2, vcc_lo, s0, v5
	v_add_co_ci_u32_e32 v5, vcc_lo, s1, v6, vcc_lo
	v_lshl_add_u32 v0, v0, 3, v9
	s_delay_alu instid0(VALU_DEP_3) | instskip(NEXT) | instid1(VALU_DEP_3)
	v_add_co_u32 v2, vcc_lo, v2, v7
	v_add_co_ci_u32_e32 v6, vcc_lo, v5, v8, vcc_lo
	s_lshl_b64 s[4:5], s[6:7], 3
	s_delay_alu instid0(VALU_DEP_2) | instskip(NEXT) | instid1(VALU_DEP_2)
	v_add_co_u32 v5, vcc_lo, s20, v2
	v_add_co_ci_u32_e32 v6, vcc_lo, s21, v6, vcc_lo
	s_sub_u32 s3, 0, s4
	s_mov_b32 s1, 0
	s_subb_u32 s4, 0, s5
	s_lshl_b32 s5, s14, 3
	s_mov_b32 s8, s14
.LBB6_96:                               ; =>This Inner Loop Header: Depth=1
	ds_load_b64 v[7:8], v0
	s_add_i32 s8, s8, -1
	v_add_nc_u32_e32 v0, s5, v0
	v_cmp_le_i32_e32 vcc_lo, s8, v1
	s_or_b32 s1, vcc_lo, s1
	s_waitcnt lgkmcnt(0)
	global_store_b64 v[5:6], v[7:8], off
	v_add_co_u32 v5, s0, v5, s3
	s_delay_alu instid0(VALU_DEP_1)
	v_add_co_ci_u32_e64 v6, s0, s4, v6, s0
	s_and_not1_b32 exec_lo, exec_lo, s1
	s_cbranch_execnz .LBB6_96
.LBB6_97:
	s_or_b32 exec_lo, exec_lo, s2
	s_cbranch_execnz .LBB6_101
.LBB6_98:
	v_cmp_lt_i32_e32 vcc_lo, -1, v1
	s_and_b32 exec_lo, exec_lo, vcc_lo
	s_cbranch_execz .LBB6_101
; %bb.99:
	v_mov_b32_e32 v2, 0
	v_lshlrev_b64 v[3:4], 3, v[3:4]
	v_lshl_add_u32 v0, v1, 3, v9
	s_lshl_b64 s[2:3], s[6:7], 3
	s_lshl_b32 s1, s14, 3
	v_lshlrev_b64 v[5:6], 3, v[1:2]
	v_add_nc_u32_e32 v1, 1, v1
	v_add_co_u32 v2, vcc_lo, s15, v3
	v_add_co_ci_u32_e32 v3, vcc_lo, s16, v4, vcc_lo
	s_mov_b32 s4, 0
	s_delay_alu instid0(VALU_DEP_2) | instskip(NEXT) | instid1(VALU_DEP_2)
	v_add_co_u32 v2, vcc_lo, v2, v5
	v_add_co_ci_u32_e32 v3, vcc_lo, v3, v6, vcc_lo
.LBB6_100:                              ; =>This Inner Loop Header: Depth=1
	ds_load_b64 v[4:5], v0
	v_add_nc_u32_e32 v1, -1, v1
	v_add_nc_u32_e32 v0, s1, v0
	s_delay_alu instid0(VALU_DEP_2) | instskip(SKIP_4) | instid1(VALU_DEP_1)
	v_cmp_eq_u32_e32 vcc_lo, 0, v1
	s_or_b32 s4, vcc_lo, s4
	s_waitcnt lgkmcnt(0)
	global_store_b64 v[2:3], v[4:5], off
	v_add_co_u32 v2, s0, v2, s2
	v_add_co_ci_u32_e64 v3, s0, s3, v3, s0
	s_and_not1_b32 exec_lo, exec_lo, s4
	s_cbranch_execnz .LBB6_100
.LBB6_101:
	s_nop 0
	s_sendmsg sendmsg(MSG_DEALLOC_VGPRS)
	s_endpgm
	.section	.rodata,"a",@progbits
	.p2align	6, 0x0
	.amdhsa_kernel _ZL29rocblas_trtri_diagonal_kernelILi16EdPKdPdEv13rocblas_fill_17rocblas_diagonal_iT1_lillT2_lilli
		.amdhsa_group_segment_fixed_size 8192
		.amdhsa_private_segment_fixed_size 0
		.amdhsa_kernarg_size 100
		.amdhsa_user_sgpr_count 14
		.amdhsa_user_sgpr_dispatch_ptr 0
		.amdhsa_user_sgpr_queue_ptr 0
		.amdhsa_user_sgpr_kernarg_segment_ptr 1
		.amdhsa_user_sgpr_dispatch_id 0
		.amdhsa_user_sgpr_private_segment_size 0
		.amdhsa_wavefront_size32 1
		.amdhsa_uses_dynamic_stack 0
		.amdhsa_enable_private_segment 0
		.amdhsa_system_sgpr_workgroup_id_x 1
		.amdhsa_system_sgpr_workgroup_id_y 0
		.amdhsa_system_sgpr_workgroup_id_z 1
		.amdhsa_system_sgpr_workgroup_info 0
		.amdhsa_system_vgpr_workitem_id 0
		.amdhsa_next_free_vgpr 34
		.amdhsa_next_free_sgpr 40
		.amdhsa_reserve_vcc 1
		.amdhsa_float_round_mode_32 0
		.amdhsa_float_round_mode_16_64 0
		.amdhsa_float_denorm_mode_32 3
		.amdhsa_float_denorm_mode_16_64 3
		.amdhsa_dx10_clamp 1
		.amdhsa_ieee_mode 1
		.amdhsa_fp16_overflow 0
		.amdhsa_workgroup_processor_mode 1
		.amdhsa_memory_ordered 1
		.amdhsa_forward_progress 0
		.amdhsa_shared_vgpr_count 0
		.amdhsa_exception_fp_ieee_invalid_op 0
		.amdhsa_exception_fp_denorm_src 0
		.amdhsa_exception_fp_ieee_div_zero 0
		.amdhsa_exception_fp_ieee_overflow 0
		.amdhsa_exception_fp_ieee_underflow 0
		.amdhsa_exception_fp_ieee_inexact 0
		.amdhsa_exception_int_div_zero 0
	.end_amdhsa_kernel
	.section	.text._ZL29rocblas_trtri_diagonal_kernelILi16EdPKdPdEv13rocblas_fill_17rocblas_diagonal_iT1_lillT2_lilli,"axG",@progbits,_ZL29rocblas_trtri_diagonal_kernelILi16EdPKdPdEv13rocblas_fill_17rocblas_diagonal_iT1_lillT2_lilli,comdat
.Lfunc_end6:
	.size	_ZL29rocblas_trtri_diagonal_kernelILi16EdPKdPdEv13rocblas_fill_17rocblas_diagonal_iT1_lillT2_lilli, .Lfunc_end6-_ZL29rocblas_trtri_diagonal_kernelILi16EdPKdPdEv13rocblas_fill_17rocblas_diagonal_iT1_lillT2_lilli
                                        ; -- End function
	.section	.AMDGPU.csdata,"",@progbits
; Kernel info:
; codeLenInByte = 4340
; NumSgprs: 42
; NumVgprs: 34
; ScratchSize: 0
; MemoryBound: 0
; FloatMode: 240
; IeeeMode: 1
; LDSByteSize: 8192 bytes/workgroup (compile time only)
; SGPRBlocks: 5
; VGPRBlocks: 4
; NumSGPRsForWavesPerEU: 42
; NumVGPRsForWavesPerEU: 34
; Occupancy: 16
; WaveLimiterHint : 0
; COMPUTE_PGM_RSRC2:SCRATCH_EN: 0
; COMPUTE_PGM_RSRC2:USER_SGPR: 14
; COMPUTE_PGM_RSRC2:TRAP_HANDLER: 0
; COMPUTE_PGM_RSRC2:TGID_X_EN: 1
; COMPUTE_PGM_RSRC2:TGID_Y_EN: 0
; COMPUTE_PGM_RSRC2:TGID_Z_EN: 1
; COMPUTE_PGM_RSRC2:TIDIG_COMP_CNT: 0
	.section	.text._ZL30rocblas_trtri_remainder_kernelILi16EdPKdPdEv13rocblas_fill_17rocblas_diagonal_iT1_lillT2_lilli,"axG",@progbits,_ZL30rocblas_trtri_remainder_kernelILi16EdPKdPdEv13rocblas_fill_17rocblas_diagonal_iT1_lillT2_lilli,comdat
	.globl	_ZL30rocblas_trtri_remainder_kernelILi16EdPKdPdEv13rocblas_fill_17rocblas_diagonal_iT1_lillT2_lilli ; -- Begin function _ZL30rocblas_trtri_remainder_kernelILi16EdPKdPdEv13rocblas_fill_17rocblas_diagonal_iT1_lillT2_lilli
	.p2align	8
	.type	_ZL30rocblas_trtri_remainder_kernelILi16EdPKdPdEv13rocblas_fill_17rocblas_diagonal_iT1_lillT2_lilli,@function
_ZL30rocblas_trtri_remainder_kernelILi16EdPKdPdEv13rocblas_fill_17rocblas_diagonal_iT1_lillT2_lilli: ; @_ZL30rocblas_trtri_remainder_kernelILi16EdPKdPdEv13rocblas_fill_17rocblas_diagonal_iT1_lillT2_lilli
; %bb.0:
	s_load_b128 s[16:19], s[0:1], 0x0
	s_waitcnt lgkmcnt(0)
	s_cmp_lt_i32 s18, 1
	s_cbranch_scc1 .LBB7_46
; %bb.1:
	s_load_b256 s[4:11], s[0:1], 0x28
	v_cmp_le_u32_e64 s3, s18, v0
	v_cmp_gt_u32_e64 s2, s18, v0
	s_delay_alu instid0(VALU_DEP_1)
	s_and_saveexec_b32 s19, s2
	s_cbranch_execz .LBB7_14
; %bb.2:
	s_clause 0x1
	s_load_b128 s[20:23], s[0:1], 0x10
	s_load_b32 s12, s[0:1], 0x20
	s_waitcnt lgkmcnt(0)
	s_mul_i32 s5, s15, s5
	s_mul_hi_u32 s13, s15, s4
	s_mul_i32 s24, s15, s4
	s_add_i32 s25, s13, s5
	s_mul_i32 s5, s14, s7
	s_mul_hi_u32 s7, s14, s6
	s_mul_i32 s6, s14, s6
	s_add_i32 s7, s7, s5
	s_cmpk_lg_i32 s16, 0x7a
	s_mov_b32 s4, -1
	s_cbranch_scc0 .LBB7_6
; %bb.3:
	s_ashr_i32 s13, s12, 31
	s_lshl_b32 s5, s18, 3
	s_ashr_i32 s4, s18, 31
	s_add_u32 s26, s18, -1
	s_addc_u32 s4, s4, -1
	s_mul_i32 s27, s26, s13
	s_mul_hi_u32 s28, s26, s12
	s_mul_i32 s4, s4, s12
	s_add_i32 s27, s28, s27
	s_mul_i32 s26, s26, s12
	s_add_i32 s27, s27, s4
	s_lshl_b64 s[28:29], s[6:7], 3
	s_lshl_b64 s[26:27], s[26:27], 3
	v_lshlrev_b32_e32 v1, 3, v0
	s_add_u32 s4, s26, s28
	s_addc_u32 s28, s27, s29
	s_lshl_b64 s[26:27], s[24:25], 3
	s_delay_alu instid0(SALU_CYCLE_1)
	s_add_u32 s4, s4, s26
	s_addc_u32 s28, s28, s27
	s_lshl_b64 s[26:27], s[22:23], 3
	v_sub_nc_u32_e32 v2, s5, v1
	s_add_u32 s4, s4, s26
	s_addc_u32 s26, s28, s27
	s_add_u32 s4, s20, s4
	s_addc_u32 s28, s21, s26
	v_add_co_u32 v1, s4, s4, v1
	v_add_nc_u32_e32 v3, -8, v2
	s_lshl_b64 s[26:27], s[12:13], 3
	v_add_co_ci_u32_e64 v2, null, s28, 0, s4
	s_sub_u32 s13, 0, s26
	s_subb_u32 s27, 0, s27
	s_mov_b32 s26, 0
	s_mov_b32 s28, s18
.LBB7_4:                                ; =>This Inner Loop Header: Depth=1
	global_load_b64 v[4:5], v[1:2], off
	s_add_i32 s28, s28, -1
	v_add_co_u32 v1, vcc_lo, v1, s13
	v_cmp_le_i32_e64 s4, s28, v0
	v_add_co_ci_u32_e32 v2, vcc_lo, s27, v2, vcc_lo
	s_delay_alu instid0(VALU_DEP_2)
	s_or_b32 s26, s4, s26
	s_waitcnt vmcnt(0)
	ds_store_b64 v3, v[4:5]
	v_add_nc_u32_e32 v3, s5, v3
	s_and_not1_b32 exec_lo, exec_lo, s26
	s_cbranch_execnz .LBB7_4
; %bb.5:
	s_or_b32 exec_lo, exec_lo, s26
	s_mov_b32 s4, 0
.LBB7_6:
	s_delay_alu instid0(SALU_CYCLE_1)
	s_and_b32 vcc_lo, exec_lo, s4
	s_cbranch_vccz .LBB7_14
; %bb.7:
	v_dual_mov_b32 v3, 0 :: v_dual_add_nc_u32 v4, 1, v0
	s_ashr_i32 s13, s12, 31
	s_mov_b32 s5, exec_lo
	v_cmpx_lt_u32_e32 2, v0
	s_cbranch_execz .LBB7_11
; %bb.8:
	s_lshl_b64 s[26:27], s[24:25], 3
	v_lshlrev_b32_e32 v5, 3, v0
	s_add_u32 s4, s20, s26
	s_addc_u32 s28, s21, s27
	s_lshl_b64 s[26:27], s[22:23], 3
	v_and_b32_e32 v3, 0x7fc, v4
	s_add_u32 s4, s4, s26
	s_addc_u32 s28, s28, s27
	s_lshl_b64 s[26:27], s[6:7], 3
	s_mul_hi_i32 s33, s12, 24
	s_add_u32 s4, s4, s26
	s_addc_u32 s26, s28, s27
	v_add_co_u32 v1, s4, s4, v5
	s_delay_alu instid0(VALU_DEP_1)
	v_add_co_ci_u32_e64 v2, null, s26, 0, s4
	s_mul_i32 s34, s12, 24
	s_lshl_b64 s[26:27], s[12:13], 5
	s_lshl_b64 s[28:29], s[12:13], 4
	;; [unrolled: 1-line block ×3, first 2 shown]
	s_lshl_b32 s35, s18, 3
	s_lshl_b32 s36, s18, 5
	;; [unrolled: 1-line block ×3, first 2 shown]
	s_mul_i32 s39, s18, 24
	s_mov_b32 s38, 0
	s_mov_b32 s40, 0
	s_set_inst_prefetch_distance 0x1
	.p2align	6
.LBB7_9:                                ; =>This Inner Loop Header: Depth=1
	v_add_co_u32 v6, vcc_lo, v1, s30
	v_add_co_ci_u32_e32 v7, vcc_lo, s31, v2, vcc_lo
	v_add_co_u32 v8, vcc_lo, v1, s28
	v_add_co_ci_u32_e32 v9, vcc_lo, s29, v2, vcc_lo
	;; [unrolled: 2-line block ×3, first 2 shown]
	s_clause 0x3
	global_load_b64 v[12:13], v[1:2], off
	global_load_b64 v[6:7], v[6:7], off
	;; [unrolled: 1-line block ×4, first 2 shown]
	s_add_i32 s40, s40, 4
	v_add_co_u32 v1, s4, v1, s26
	v_cmp_eq_u32_e32 vcc_lo, s40, v3
	v_add_nc_u32_e32 v14, s35, v5
	v_add_nc_u32_e32 v15, s37, v5
	;; [unrolled: 1-line block ×3, first 2 shown]
	v_add_co_ci_u32_e64 v2, s4, s27, v2, s4
	s_or_b32 s38, vcc_lo, s38
	s_waitcnt vmcnt(3)
	ds_store_b64 v5, v[12:13]
	v_add_nc_u32_e32 v5, s36, v5
	s_waitcnt vmcnt(2)
	ds_store_b64 v14, v[6:7]
	s_waitcnt vmcnt(1)
	ds_store_b64 v15, v[8:9]
	s_waitcnt vmcnt(0)
	ds_store_b64 v16, v[10:11]
	s_and_not1_b32 exec_lo, exec_lo, s38
	s_cbranch_execnz .LBB7_9
; %bb.10:
	s_set_inst_prefetch_distance 0x2
	s_or_b32 exec_lo, exec_lo, s38
.LBB7_11:
	s_delay_alu instid0(SALU_CYCLE_1) | instskip(SKIP_2) | instid1(VALU_DEP_1)
	s_or_b32 exec_lo, exec_lo, s5
	v_and_b32_e32 v4, 3, v4
	s_mov_b32 s5, 0
	v_cmp_ne_u32_e32 vcc_lo, 0, v4
	s_and_b32 exec_lo, exec_lo, vcc_lo
	s_cbranch_execz .LBB7_14
; %bb.12:
	v_mad_i64_i32 v[1:2], null, s12, v3, 0
	s_lshl_b64 s[6:7], s[6:7], 3
	s_lshl_b64 s[26:27], s[24:25], 3
	s_lshl_b32 s24, s18, 3
	s_add_u32 s4, s6, s26
	s_addc_u32 s25, s7, s27
	s_lshl_b64 s[6:7], s[22:23], 3
	s_delay_alu instid0(VALU_DEP_1) | instskip(SKIP_4) | instid1(VALU_DEP_3)
	v_lshlrev_b64 v[1:2], 3, v[1:2]
	s_add_u32 s4, s6, s4
	v_lshlrev_b32_e32 v5, 3, v0
	s_addc_u32 s6, s7, s25
	v_mul_lo_u32 v3, v3, s18
	v_add_co_u32 v1, vcc_lo, s4, v1
	v_add_co_ci_u32_e32 v2, vcc_lo, s6, v2, vcc_lo
	s_lshl_b64 s[6:7], s[12:13], 3
	s_delay_alu instid0(VALU_DEP_2) | instskip(NEXT) | instid1(VALU_DEP_2)
	v_add_co_u32 v1, vcc_lo, v1, v5
	v_add_co_ci_u32_e32 v2, vcc_lo, 0, v2, vcc_lo
	v_add_lshl_u32 v3, v0, v3, 3
	s_delay_alu instid0(VALU_DEP_3) | instskip(NEXT) | instid1(VALU_DEP_3)
	v_add_co_u32 v1, vcc_lo, s20, v1
	v_add_co_ci_u32_e32 v2, vcc_lo, s21, v2, vcc_lo
.LBB7_13:                               ; =>This Inner Loop Header: Depth=1
	global_load_b64 v[5:6], v[1:2], off
	v_add_nc_u32_e32 v4, -1, v4
	v_add_co_u32 v1, vcc_lo, v1, s6
	v_add_co_ci_u32_e32 v2, vcc_lo, s7, v2, vcc_lo
	s_delay_alu instid0(VALU_DEP_3) | instskip(NEXT) | instid1(VALU_DEP_1)
	v_cmp_eq_u32_e64 s4, 0, v4
	s_or_b32 s5, s4, s5
	s_waitcnt vmcnt(0)
	ds_store_b64 v3, v[5:6]
	v_add_nc_u32_e32 v3, s24, v3
	s_and_not1_b32 exec_lo, exec_lo, s5
	s_cbranch_execnz .LBB7_13
.LBB7_14:
	s_or_b32 exec_lo, exec_lo, s19
	s_waitcnt lgkmcnt(0)
	s_barrier
	buffer_gl0_inv
                                        ; implicit-def: $vgpr1
	s_and_saveexec_b32 s4, s3
	s_delay_alu instid0(SALU_CYCLE_1)
	s_xor_b32 s3, exec_lo, s4
; %bb.15:
	v_mad_u64_u32 v[1:2], null, v0, s18, v[0:1]
; %bb.16:
	s_and_not1_saveexec_b32 s3, s3
	s_cbranch_execz .LBB7_22
; %bb.17:
	s_delay_alu instid0(VALU_DEP_1) | instskip(SKIP_3) | instid1(VALU_DEP_3)
	v_mad_u64_u32 v[1:2], null, v0, s18, v[0:1]
	v_mov_b32_e32 v2, 0
	v_mov_b32_e32 v3, 0x3ff00000
	s_cmpk_eq_i32 s17, 0x84
	v_lshlrev_b32_e32 v6, 3, v1
	s_cbranch_scc1 .LBB7_21
; %bb.18:
	ds_load_b64 v[4:5], v6
	v_mov_b32_e32 v2, 0
	v_mov_b32_e32 v3, 0x3ff00000
	s_mov_b32 s4, exec_lo
	s_waitcnt lgkmcnt(0)
	v_cmpx_neq_f64_e32 0, v[4:5]
; %bb.19:
	v_div_scale_f64 v[2:3], null, v[4:5], v[4:5], 1.0
	s_delay_alu instid0(VALU_DEP_1) | instskip(SKIP_2) | instid1(VALU_DEP_1)
	v_rcp_f64_e32 v[7:8], v[2:3]
	s_waitcnt_depctr 0xfff
	v_fma_f64 v[9:10], -v[2:3], v[7:8], 1.0
	v_fma_f64 v[7:8], v[7:8], v[9:10], v[7:8]
	s_delay_alu instid0(VALU_DEP_1) | instskip(NEXT) | instid1(VALU_DEP_1)
	v_fma_f64 v[9:10], -v[2:3], v[7:8], 1.0
	v_fma_f64 v[7:8], v[7:8], v[9:10], v[7:8]
	v_div_scale_f64 v[9:10], vcc_lo, 1.0, v[4:5], 1.0
	s_delay_alu instid0(VALU_DEP_1) | instskip(NEXT) | instid1(VALU_DEP_1)
	v_mul_f64 v[11:12], v[9:10], v[7:8]
	v_fma_f64 v[2:3], -v[2:3], v[11:12], v[9:10]
	s_delay_alu instid0(VALU_DEP_1) | instskip(NEXT) | instid1(VALU_DEP_1)
	v_div_fmas_f64 v[2:3], v[2:3], v[7:8], v[11:12]
	v_div_fixup_f64 v[2:3], v[2:3], v[4:5], 1.0
; %bb.20:
	s_or_b32 exec_lo, exec_lo, s4
.LBB7_21:
	ds_store_b64 v6, v[2:3]
.LBB7_22:
	s_or_b32 exec_lo, exec_lo, s3
	s_delay_alu instid0(VALU_DEP_1)
	v_lshlrev_b32_e32 v3, 3, v1
	v_add_lshl_u32 v4, v0, s18, 3
	s_lshl_b32 s19, s18, 3
	s_mov_b32 s3, 8
	s_add_i32 s4, s19, 8
	s_mov_b32 s5, 0
	s_waitcnt lgkmcnt(0)
	s_barrier
	buffer_gl0_inv
	s_branch .LBB7_24
.LBB7_23:                               ;   in Loop: Header=BB7_24 Depth=1
	s_set_inst_prefetch_distance 0x2
	v_add_nc_u32_e32 v4, s19, v4
	s_add_i32 s3, s3, s4
	s_cmp_eq_u32 s5, s18
	s_barrier
	buffer_gl0_inv
	s_cbranch_scc1 .LBB7_33
.LBB7_24:                               ; =>This Loop Header: Depth=1
                                        ;     Child Loop BB7_29 Depth 2
	s_mul_i32 s7, s5, s18
	v_mov_b32_e32 v1, 0
	v_mov_b32_e32 v2, 0
	v_add_lshl_u32 v5, s7, v0, 3
	s_mov_b32 s6, exec_lo
	v_cmpx_lt_u32_e64 s5, v0
	s_cbranch_execz .LBB7_26
; %bb.25:                               ;   in Loop: Header=BB7_24 Depth=1
	s_add_i32 s7, s7, s5
	s_delay_alu instid0(SALU_CYCLE_1) | instskip(NEXT) | instid1(SALU_CYCLE_1)
	s_lshl_b32 s7, s7, 3
	v_mov_b32_e32 v6, s7
	ds_load_b64 v[1:2], v5
	ds_load_b64 v[6:7], v6
	s_waitcnt lgkmcnt(0)
	v_fma_f64 v[1:2], v[1:2], v[6:7], 0
.LBB7_26:                               ;   in Loop: Header=BB7_24 Depth=1
	s_or_b32 exec_lo, exec_lo, s6
	s_add_i32 s5, s5, 1
	s_delay_alu instid0(SALU_CYCLE_1)
	s_cmp_ge_i32 s5, s18
	s_barrier
	buffer_gl0_inv
	s_cbranch_scc1 .LBB7_23
; %bb.27:                               ;   in Loop: Header=BB7_24 Depth=1
	v_mov_b32_e32 v6, v4
	s_mov_b32 s6, s3
	s_mov_b32 s7, s5
	s_set_inst_prefetch_distance 0x1
	s_branch .LBB7_29
	.p2align	6
.LBB7_28:                               ;   in Loop: Header=BB7_29 Depth=2
	s_or_b32 exec_lo, exec_lo, s12
	v_add_nc_u32_e32 v6, s19, v6
	s_add_i32 s7, s7, 1
	s_add_i32 s6, s6, 8
	s_cmp_ge_i32 s7, s18
	s_barrier
	buffer_gl0_inv
	s_cbranch_scc1 .LBB7_23
.LBB7_29:                               ;   Parent Loop BB7_24 Depth=1
                                        ; =>  This Inner Loop Header: Depth=2
	s_mov_b32 s12, exec_lo
	v_cmpx_eq_u32_e64 s7, v0
	s_cbranch_execz .LBB7_31
; %bb.30:                               ;   in Loop: Header=BB7_29 Depth=2
	v_add_f64 v[7:8], -v[1:2], 0
	ds_load_b64 v[9:10], v3
	s_waitcnt lgkmcnt(0)
	v_mul_f64 v[7:8], v[7:8], v[9:10]
	ds_store_b64 v5, v[7:8]
.LBB7_31:                               ;   in Loop: Header=BB7_29 Depth=2
	s_or_b32 exec_lo, exec_lo, s12
	s_delay_alu instid0(SALU_CYCLE_1)
	s_mov_b32 s12, exec_lo
	s_waitcnt lgkmcnt(0)
	s_barrier
	buffer_gl0_inv
	v_cmpx_lt_u32_e64 s7, v0
	s_cbranch_execz .LBB7_28
; %bb.32:                               ;   in Loop: Header=BB7_29 Depth=2
	v_mov_b32_e32 v9, s6
	ds_load_b64 v[7:8], v6
	ds_load_b64 v[9:10], v9
	s_waitcnt lgkmcnt(0)
	v_fma_f64 v[1:2], v[7:8], v[9:10], v[1:2]
	s_branch .LBB7_28
.LBB7_33:
	s_and_saveexec_b32 s3, s2
	s_cbranch_execz .LBB7_46
; %bb.34:
	s_clause 0x1
	s_load_b128 s[4:7], s[0:1], 0x50
	s_load_b32 s2, s[0:1], 0x48
	v_lshlrev_b32_e32 v3, 3, v0
	s_waitcnt lgkmcnt(0)
	s_mul_i32 s0, s15, s5
	s_mul_hi_u32 s1, s15, s4
	s_mul_i32 s3, s14, s7
	s_mul_hi_u32 s7, s14, s6
	s_add_i32 s5, s1, s0
	s_add_i32 s7, s7, s3
	s_mul_i32 s4, s15, s4
	s_mul_i32 s6, s14, s6
	s_cmpk_lg_i32 s16, 0x7a
	s_mov_b32 s0, -1
	s_cbranch_scc0 .LBB7_38
; %bb.35:
	s_add_i32 s14, s18, -1
	s_lshl_b64 s[0:1], s[6:7], 3
	s_lshl_b64 s[12:13], s[4:5], 3
	s_ashr_i32 s3, s2, 31
	s_add_u32 s12, s0, s12
	s_mul_i32 s0, s3, s14
	s_mul_hi_u32 s15, s2, s14
	s_addc_u32 s13, s1, s13
	s_add_i32 s1, s15, s0
	s_mul_i32 s0, s2, s14
	v_lshlrev_b32_e32 v1, 3, v0
	s_lshl_b64 s[0:1], s[0:1], 3
	s_delay_alu instid0(SALU_CYCLE_1)
	s_add_u32 s12, s12, s0
	s_addc_u32 s13, s13, s1
	s_lshl_b64 s[0:1], s[10:11], 3
	v_sub_nc_u32_e32 v4, s19, v1
	s_add_u32 s0, s12, s0
	s_addc_u32 s1, s13, s1
	s_add_u32 s0, s8, s0
	s_addc_u32 s1, s9, s1
	v_add_co_u32 v1, s0, s0, v1
	s_lshl_b64 s[12:13], s[2:3], 3
	v_add_co_ci_u32_e64 v2, null, s1, 0, s0
	v_add_nc_u32_e32 v4, -8, v4
	s_sub_u32 s1, 0, s12
	s_subb_u32 s12, 0, s13
	s_mov_b32 s3, 0
	s_mov_b32 s13, s18
.LBB7_36:                               ; =>This Inner Loop Header: Depth=1
	ds_load_b64 v[5:6], v4
	s_add_i32 s13, s13, -1
	v_add_nc_u32_e32 v4, s19, v4
	v_cmp_le_i32_e32 vcc_lo, s13, v0
	s_or_b32 s3, vcc_lo, s3
	s_waitcnt lgkmcnt(0)
	global_store_b64 v[1:2], v[5:6], off
	v_add_co_u32 v1, s0, v1, s1
	s_delay_alu instid0(VALU_DEP_1)
	v_add_co_ci_u32_e64 v2, s0, s12, v2, s0
	s_and_not1_b32 exec_lo, exec_lo, s3
	s_cbranch_execnz .LBB7_36
; %bb.37:
	s_or_b32 exec_lo, exec_lo, s3
	s_mov_b32 s0, 0
.LBB7_38:
	s_delay_alu instid0(SALU_CYCLE_1)
	s_and_b32 vcc_lo, exec_lo, s0
	s_cbranch_vccz .LBB7_46
; %bb.39:
	v_dual_mov_b32 v4, 0 :: v_dual_add_nc_u32 v5, 1, v0
	s_ashr_i32 s3, s2, 31
	s_mov_b32 s1, exec_lo
	v_cmpx_lt_u32_e32 2, v0
	s_cbranch_execz .LBB7_43
; %bb.40:
	s_lshl_b64 s[12:13], s[4:5], 3
	v_and_b32_e32 v4, 0x7fc, v5
	s_add_u32 s0, s8, s12
	s_addc_u32 s14, s9, s13
	s_lshl_b64 s[12:13], s[10:11], 3
	v_mov_b32_e32 v6, v3
	s_add_u32 s0, s0, s12
	s_addc_u32 s14, s14, s13
	s_lshl_b64 s[12:13], s[6:7], 3
	s_mul_hi_i32 s20, s2, 24
	s_add_u32 s0, s0, s12
	s_addc_u32 s12, s14, s13
	v_add_co_u32 v1, s0, s0, v3
	s_delay_alu instid0(VALU_DEP_1)
	v_add_co_ci_u32_e64 v2, null, s12, 0, s0
	s_mul_i32 s21, s2, 24
	s_lshl_b64 s[12:13], s[2:3], 5
	s_lshl_b64 s[14:15], s[2:3], 4
	;; [unrolled: 1-line block ×3, first 2 shown]
	s_lshl_b32 s22, s18, 5
	s_lshl_b32 s23, s18, 4
	s_mul_i32 s25, s18, 24
	s_mov_b32 s24, 0
	s_mov_b32 s26, 0
	s_set_inst_prefetch_distance 0x1
	.p2align	6
.LBB7_41:                               ; =>This Inner Loop Header: Depth=1
	ds_load_b64 v[7:8], v6
	v_add_nc_u32_e32 v11, s19, v6
	v_add_nc_u32_e32 v13, s23, v6
	v_add_nc_u32_e32 v15, s25, v6
	v_add_co_u32 v9, vcc_lo, v1, s16
	ds_load_b64 v[11:12], v11
	ds_load_b64 v[13:14], v13
	;; [unrolled: 1-line block ×3, first 2 shown]
	v_add_co_ci_u32_e32 v10, vcc_lo, s17, v2, vcc_lo
	v_add_co_u32 v17, vcc_lo, v1, s14
	v_add_co_ci_u32_e32 v18, vcc_lo, s15, v2, vcc_lo
	v_add_co_u32 v19, vcc_lo, v1, s21
	s_add_i32 s26, s26, 4
	v_add_co_ci_u32_e32 v20, vcc_lo, s20, v2, vcc_lo
	v_cmp_eq_u32_e32 vcc_lo, s26, v4
	v_add_nc_u32_e32 v6, s22, v6
	s_waitcnt lgkmcnt(3)
	global_store_b64 v[1:2], v[7:8], off
	v_add_co_u32 v1, s0, v1, s12
	s_delay_alu instid0(VALU_DEP_1)
	v_add_co_ci_u32_e64 v2, s0, s13, v2, s0
	s_or_b32 s24, vcc_lo, s24
	s_waitcnt lgkmcnt(2)
	global_store_b64 v[9:10], v[11:12], off
	s_waitcnt lgkmcnt(1)
	global_store_b64 v[17:18], v[13:14], off
	;; [unrolled: 2-line block ×3, first 2 shown]
	s_and_not1_b32 exec_lo, exec_lo, s24
	s_cbranch_execnz .LBB7_41
; %bb.42:
	s_set_inst_prefetch_distance 0x2
	s_or_b32 exec_lo, exec_lo, s24
.LBB7_43:
	s_delay_alu instid0(SALU_CYCLE_1) | instskip(SKIP_2) | instid1(VALU_DEP_1)
	s_or_b32 exec_lo, exec_lo, s1
	v_and_b32_e32 v5, 3, v5
	s_mov_b32 s1, 0
	v_cmp_ne_u32_e32 vcc_lo, 0, v5
	s_and_b32 exec_lo, exec_lo, vcc_lo
	s_cbranch_execz .LBB7_46
; %bb.44:
	v_mad_i64_i32 v[1:2], null, s2, v4, 0
	s_lshl_b64 s[6:7], s[6:7], 3
	s_lshl_b64 s[4:5], s[4:5], 3
	v_mul_lo_u32 v4, v4, s18
	s_add_u32 s0, s6, s4
	s_addc_u32 s6, s7, s5
	s_lshl_b64 s[4:5], s[10:11], 3
	s_delay_alu instid0(VALU_DEP_2) | instskip(SKIP_4) | instid1(VALU_DEP_2)
	v_lshlrev_b64 v[1:2], 3, v[1:2]
	s_add_u32 s0, s4, s0
	s_addc_u32 s4, s5, s6
	s_lshl_b64 s[2:3], s[2:3], 3
	v_add_lshl_u32 v0, v0, v4, 3
	v_add_co_u32 v1, vcc_lo, s0, v1
	v_add_co_ci_u32_e32 v2, vcc_lo, s4, v2, vcc_lo
	s_delay_alu instid0(VALU_DEP_2) | instskip(NEXT) | instid1(VALU_DEP_2)
	v_add_co_u32 v1, vcc_lo, v1, v3
	v_add_co_ci_u32_e32 v2, vcc_lo, 0, v2, vcc_lo
	s_delay_alu instid0(VALU_DEP_2) | instskip(NEXT) | instid1(VALU_DEP_2)
	v_add_co_u32 v1, vcc_lo, s8, v1
	v_add_co_ci_u32_e32 v2, vcc_lo, s9, v2, vcc_lo
.LBB7_45:                               ; =>This Inner Loop Header: Depth=1
	ds_load_b64 v[3:4], v0
	v_add_nc_u32_e32 v5, -1, v5
	v_add_nc_u32_e32 v0, s19, v0
	s_delay_alu instid0(VALU_DEP_2) | instskip(SKIP_4) | instid1(VALU_DEP_1)
	v_cmp_eq_u32_e32 vcc_lo, 0, v5
	s_or_b32 s1, vcc_lo, s1
	s_waitcnt lgkmcnt(0)
	global_store_b64 v[1:2], v[3:4], off
	v_add_co_u32 v1, s0, v1, s2
	v_add_co_ci_u32_e64 v2, s0, s3, v2, s0
	s_and_not1_b32 exec_lo, exec_lo, s1
	s_cbranch_execnz .LBB7_45
.LBB7_46:
	s_nop 0
	s_sendmsg sendmsg(MSG_DEALLOC_VGPRS)
	s_endpgm
	.section	.rodata,"a",@progbits
	.p2align	6, 0x0
	.amdhsa_kernel _ZL30rocblas_trtri_remainder_kernelILi16EdPKdPdEv13rocblas_fill_17rocblas_diagonal_iT1_lillT2_lilli
		.amdhsa_group_segment_fixed_size 8192
		.amdhsa_private_segment_fixed_size 0
		.amdhsa_kernarg_size 100
		.amdhsa_user_sgpr_count 14
		.amdhsa_user_sgpr_dispatch_ptr 0
		.amdhsa_user_sgpr_queue_ptr 0
		.amdhsa_user_sgpr_kernarg_segment_ptr 1
		.amdhsa_user_sgpr_dispatch_id 0
		.amdhsa_user_sgpr_private_segment_size 0
		.amdhsa_wavefront_size32 1
		.amdhsa_uses_dynamic_stack 0
		.amdhsa_enable_private_segment 0
		.amdhsa_system_sgpr_workgroup_id_x 1
		.amdhsa_system_sgpr_workgroup_id_y 0
		.amdhsa_system_sgpr_workgroup_id_z 1
		.amdhsa_system_sgpr_workgroup_info 0
		.amdhsa_system_vgpr_workitem_id 0
		.amdhsa_next_free_vgpr 21
		.amdhsa_next_free_sgpr 41
		.amdhsa_reserve_vcc 1
		.amdhsa_float_round_mode_32 0
		.amdhsa_float_round_mode_16_64 0
		.amdhsa_float_denorm_mode_32 3
		.amdhsa_float_denorm_mode_16_64 3
		.amdhsa_dx10_clamp 1
		.amdhsa_ieee_mode 1
		.amdhsa_fp16_overflow 0
		.amdhsa_workgroup_processor_mode 1
		.amdhsa_memory_ordered 1
		.amdhsa_forward_progress 0
		.amdhsa_shared_vgpr_count 0
		.amdhsa_exception_fp_ieee_invalid_op 0
		.amdhsa_exception_fp_denorm_src 0
		.amdhsa_exception_fp_ieee_div_zero 0
		.amdhsa_exception_fp_ieee_overflow 0
		.amdhsa_exception_fp_ieee_underflow 0
		.amdhsa_exception_fp_ieee_inexact 0
		.amdhsa_exception_int_div_zero 0
	.end_amdhsa_kernel
	.section	.text._ZL30rocblas_trtri_remainder_kernelILi16EdPKdPdEv13rocblas_fill_17rocblas_diagonal_iT1_lillT2_lilli,"axG",@progbits,_ZL30rocblas_trtri_remainder_kernelILi16EdPKdPdEv13rocblas_fill_17rocblas_diagonal_iT1_lillT2_lilli,comdat
.Lfunc_end7:
	.size	_ZL30rocblas_trtri_remainder_kernelILi16EdPKdPdEv13rocblas_fill_17rocblas_diagonal_iT1_lillT2_lilli, .Lfunc_end7-_ZL30rocblas_trtri_remainder_kernelILi16EdPKdPdEv13rocblas_fill_17rocblas_diagonal_iT1_lillT2_lilli
                                        ; -- End function
	.section	.AMDGPU.csdata,"",@progbits
; Kernel info:
; codeLenInByte = 2320
; NumSgprs: 43
; NumVgprs: 21
; ScratchSize: 0
; MemoryBound: 0
; FloatMode: 240
; IeeeMode: 1
; LDSByteSize: 8192 bytes/workgroup (compile time only)
; SGPRBlocks: 5
; VGPRBlocks: 2
; NumSGPRsForWavesPerEU: 43
; NumVGPRsForWavesPerEU: 21
; Occupancy: 16
; WaveLimiterHint : 0
; COMPUTE_PGM_RSRC2:SCRATCH_EN: 0
; COMPUTE_PGM_RSRC2:USER_SGPR: 14
; COMPUTE_PGM_RSRC2:TRAP_HANDLER: 0
; COMPUTE_PGM_RSRC2:TGID_X_EN: 1
; COMPUTE_PGM_RSRC2:TGID_Y_EN: 0
; COMPUTE_PGM_RSRC2:TGID_Z_EN: 1
; COMPUTE_PGM_RSRC2:TIDIG_COMP_CNT: 0
	.section	.text._ZL18rocblas_trtri_fillILi128E19rocblas_complex_numIfEPS1_EvP15_rocblas_handle13rocblas_fill_ililT1_llii,"axG",@progbits,_ZL18rocblas_trtri_fillILi128E19rocblas_complex_numIfEPS1_EvP15_rocblas_handle13rocblas_fill_ililT1_llii,comdat
	.globl	_ZL18rocblas_trtri_fillILi128E19rocblas_complex_numIfEPS1_EvP15_rocblas_handle13rocblas_fill_ililT1_llii ; -- Begin function _ZL18rocblas_trtri_fillILi128E19rocblas_complex_numIfEPS1_EvP15_rocblas_handle13rocblas_fill_ililT1_llii
	.p2align	8
	.type	_ZL18rocblas_trtri_fillILi128E19rocblas_complex_numIfEPS1_EvP15_rocblas_handle13rocblas_fill_ililT1_llii,@function
_ZL18rocblas_trtri_fillILi128E19rocblas_complex_numIfEPS1_EvP15_rocblas_handle13rocblas_fill_ililT1_llii: ; @_ZL18rocblas_trtri_fillILi128E19rocblas_complex_numIfEPS1_EvP15_rocblas_handle13rocblas_fill_ililT1_llii
; %bb.0:
	s_clause 0x1
	s_load_b64 s[12:13], s[0:1], 0x10
	s_load_b32 s3, s[0:1], 0x40
	s_mov_b32 s2, s15
	s_mov_b32 s15, 0
	s_delay_alu instid0(SALU_CYCLE_1) | instskip(NEXT) | instid1(SALU_CYCLE_1)
	s_lshl_b64 s[4:5], s[14:15], 7
	v_mov_b32_e32 v1, s5
	v_or_b32_e32 v0, s4, v0
	s_waitcnt lgkmcnt(0)
	s_mul_i32 s4, s3, s13
	s_mul_hi_u32 s5, s3, s12
	s_ashr_i32 s6, s3, 31
	s_add_i32 s4, s5, s4
	s_mul_i32 s6, s6, s12
	s_mul_i32 s16, s3, s12
	s_add_i32 s17, s4, s6
	s_mov_b32 s3, exec_lo
	v_cmpx_gt_u64_e64 s[16:17], v[0:1]
	s_cbranch_execz .LBB8_16
; %bb.1:
	s_clause 0x2
	s_load_b256 s[4:11], s[0:1], 0x20
	s_load_b32 s18, s[0:1], 0x18
	s_load_b64 s[20:21], s[0:1], 0x8
	v_cvt_f32_u32_e32 v4, s12
	v_cvt_f32_u32_e32 v2, s12
	;; [unrolled: 1-line block ×3, first 2 shown]
	s_clause 0x1
	s_load_b32 s14, s[0:1], 0x48
	s_load_b32 s0, s[0:1], 0x54
	v_rcp_iflag_f32_e32 v4, v4
	v_fmamk_f32 v5, v3, 0x4f800000, v2
	s_delay_alu instid0(VALU_DEP_1)
	v_rcp_f32_e32 v5, v5
	s_waitcnt_depctr 0xfff
	v_mul_f32_e32 v4, 0x4f7ffffe, v4
	s_waitcnt lgkmcnt(0)
	s_mul_i32 s3, s2, s11
	s_mul_hi_u32 s11, s2, s10
	s_mul_i32 s2, s2, s10
	s_add_i32 s3, s11, s3
	s_ashr_i32 s19, s18, 31
	s_lshl_b64 s[2:3], s[2:3], 3
	v_cvt_u32_f32_e32 v6, v4
	s_add_u32 s6, s6, s2
	s_addc_u32 s7, s7, s3
	s_lshl_b64 s[2:3], s[8:9], 3
	v_mul_f32_e32 v5, 0x5f7ffffc, v5
	s_add_u32 s6, s6, s2
	s_addc_u32 s7, s7, s3
	s_add_i32 s2, s21, -2
	s_ashr_i32 s8, s21, 31
	v_cvt_f64_i32_e32 v[2:3], s2
	s_add_i32 s2, s21, -1
	v_mul_f32_e32 v4, 0x2f800000, v5
	s_mul_hi_i32 s3, s2, s21
	s_mul_i32 s2, s2, s21
	s_delay_alu instid0(SALU_CYCLE_1) | instskip(NEXT) | instid1(VALU_DEP_1)
	s_lshl_b64 s[10:11], s[2:3], 2
	v_trunc_f32_e32 v8, v4
	s_add_u32 s1, s10, -7
	s_addc_u32 s9, s11, -1
	s_sub_i32 s10, 0, s12
	v_mov_b32_e32 v4, 0
	v_mul_lo_u32 v7, s10, v6
	v_fmamk_f32 v5, v8, 0xcf800000, v5
	v_cvt_u32_f32_e32 v12, v8
	s_and_b32 s0, s0, 0xffff
	s_mov_b32 s10, s21
	s_lshr_b64 s[2:3], s[2:3], 1
	v_cvt_u32_f32_e32 v11, v5
	s_mul_hi_u32 s11, s0, s14
	v_mul_hi_u32 v7, v6, v7
	s_mul_i32 s14, s0, s14
	s_delay_alu instid0(VALU_DEP_1)
	v_add_nc_u32_e32 v13, v6, v7
	s_branch .LBB8_3
.LBB8_2:                                ;   in Loop: Header=BB8_3 Depth=1
	v_add_co_u32 v0, vcc_lo, v0, s14
	v_add_co_ci_u32_e32 v1, vcc_lo, s11, v1, vcc_lo
	s_delay_alu instid0(VALU_DEP_1) | instskip(SKIP_1) | instid1(SALU_CYCLE_1)
	v_cmp_le_u64_e32 vcc_lo, s[16:17], v[0:1]
	s_or_b32 s15, vcc_lo, s15
	s_and_not1_b32 exec_lo, exec_lo, s15
	s_cbranch_execz .LBB8_16
.LBB8_3:                                ; =>This Inner Loop Header: Depth=1
	v_or_b32_e32 v5, s13, v1
	s_delay_alu instid0(VALU_DEP_1) | instskip(SKIP_1) | instid1(SALU_CYCLE_1)
	v_cmp_ne_u64_e32 vcc_lo, 0, v[4:5]
                                        ; implicit-def: $vgpr5_vgpr6
	s_and_saveexec_b32 s0, vcc_lo
	s_xor_b32 s21, exec_lo, s0
	s_cbranch_execz .LBB8_5
; %bb.4:                                ;   in Loop: Header=BB8_3 Depth=1
	s_sub_u32 s0, 0, s12
	s_subb_u32 s22, 0, s13
	v_mul_hi_u32 v5, s0, v11
	v_mul_lo_u32 v6, s0, v12
	v_mul_lo_u32 v7, s22, v11
	s_delay_alu instid0(VALU_DEP_2) | instskip(SKIP_1) | instid1(VALU_DEP_2)
	v_add_nc_u32_e32 v5, v5, v6
	v_mul_lo_u32 v6, s0, v11
	v_add_nc_u32_e32 v5, v5, v7
	s_delay_alu instid0(VALU_DEP_2) | instskip(NEXT) | instid1(VALU_DEP_2)
	v_mul_hi_u32 v7, v11, v6
	v_mul_lo_u32 v8, v11, v5
	v_mul_hi_u32 v9, v11, v5
	v_mul_hi_u32 v10, v12, v6
	v_mul_lo_u32 v6, v12, v6
	v_mul_hi_u32 v14, v12, v5
	v_mul_lo_u32 v5, v12, v5
	v_add_co_u32 v7, vcc_lo, v7, v8
	v_add_co_ci_u32_e32 v8, vcc_lo, 0, v9, vcc_lo
	s_delay_alu instid0(VALU_DEP_2) | instskip(NEXT) | instid1(VALU_DEP_2)
	v_add_co_u32 v6, vcc_lo, v7, v6
	v_add_co_ci_u32_e32 v6, vcc_lo, v8, v10, vcc_lo
	v_add_co_ci_u32_e32 v7, vcc_lo, 0, v14, vcc_lo
	s_delay_alu instid0(VALU_DEP_2) | instskip(NEXT) | instid1(VALU_DEP_2)
	v_add_co_u32 v5, vcc_lo, v6, v5
	v_add_co_ci_u32_e32 v6, vcc_lo, 0, v7, vcc_lo
	s_delay_alu instid0(VALU_DEP_2) | instskip(NEXT) | instid1(VALU_DEP_2)
	v_add_co_u32 v5, vcc_lo, v11, v5
	v_add_co_ci_u32_e32 v6, vcc_lo, v12, v6, vcc_lo
	s_delay_alu instid0(VALU_DEP_2) | instskip(SKIP_1) | instid1(VALU_DEP_3)
	v_mul_hi_u32 v7, s0, v5
	v_mul_lo_u32 v9, s22, v5
	v_mul_lo_u32 v8, s0, v6
	s_delay_alu instid0(VALU_DEP_1) | instskip(SKIP_1) | instid1(VALU_DEP_2)
	v_add_nc_u32_e32 v7, v7, v8
	v_mul_lo_u32 v8, s0, v5
	v_add_nc_u32_e32 v7, v7, v9
	s_delay_alu instid0(VALU_DEP_2) | instskip(NEXT) | instid1(VALU_DEP_2)
	v_mul_hi_u32 v9, v5, v8
	v_mul_lo_u32 v10, v5, v7
	v_mul_hi_u32 v14, v5, v7
	v_mul_hi_u32 v15, v6, v8
	v_mul_lo_u32 v8, v6, v8
	v_mul_hi_u32 v16, v6, v7
	v_mul_lo_u32 v7, v6, v7
	v_add_co_u32 v9, vcc_lo, v9, v10
	v_add_co_ci_u32_e32 v10, vcc_lo, 0, v14, vcc_lo
	s_delay_alu instid0(VALU_DEP_2) | instskip(NEXT) | instid1(VALU_DEP_2)
	v_add_co_u32 v8, vcc_lo, v9, v8
	v_add_co_ci_u32_e32 v8, vcc_lo, v10, v15, vcc_lo
	v_add_co_ci_u32_e32 v9, vcc_lo, 0, v16, vcc_lo
	s_delay_alu instid0(VALU_DEP_2) | instskip(NEXT) | instid1(VALU_DEP_2)
	v_add_co_u32 v7, vcc_lo, v8, v7
	v_add_co_ci_u32_e32 v8, vcc_lo, 0, v9, vcc_lo
	s_delay_alu instid0(VALU_DEP_2) | instskip(NEXT) | instid1(VALU_DEP_2)
	v_add_co_u32 v9, vcc_lo, v5, v7
	v_add_co_ci_u32_e32 v14, vcc_lo, v6, v8, vcc_lo
	s_delay_alu instid0(VALU_DEP_2) | instskip(SKIP_1) | instid1(VALU_DEP_3)
	v_mul_hi_u32 v15, v0, v9
	v_mad_u64_u32 v[7:8], null, v1, v9, 0
	v_mad_u64_u32 v[5:6], null, v0, v14, 0
	;; [unrolled: 1-line block ×3, first 2 shown]
	s_delay_alu instid0(VALU_DEP_2) | instskip(NEXT) | instid1(VALU_DEP_3)
	v_add_co_u32 v5, vcc_lo, v15, v5
	v_add_co_ci_u32_e32 v6, vcc_lo, 0, v6, vcc_lo
	s_delay_alu instid0(VALU_DEP_2) | instskip(NEXT) | instid1(VALU_DEP_2)
	v_add_co_u32 v5, vcc_lo, v5, v7
	v_add_co_ci_u32_e32 v5, vcc_lo, v6, v8, vcc_lo
	v_add_co_ci_u32_e32 v6, vcc_lo, 0, v10, vcc_lo
	s_delay_alu instid0(VALU_DEP_2) | instskip(NEXT) | instid1(VALU_DEP_2)
	v_add_co_u32 v7, vcc_lo, v5, v9
	v_add_co_ci_u32_e32 v8, vcc_lo, 0, v6, vcc_lo
	s_delay_alu instid0(VALU_DEP_2) | instskip(SKIP_1) | instid1(VALU_DEP_3)
	v_mul_lo_u32 v9, s13, v7
	v_mad_u64_u32 v[5:6], null, s12, v7, 0
	v_mul_lo_u32 v10, s12, v8
	s_delay_alu instid0(VALU_DEP_2) | instskip(NEXT) | instid1(VALU_DEP_2)
	v_sub_co_u32 v5, vcc_lo, v0, v5
	v_add3_u32 v6, v6, v10, v9
	s_delay_alu instid0(VALU_DEP_1) | instskip(NEXT) | instid1(VALU_DEP_1)
	v_sub_nc_u32_e32 v9, v1, v6
	v_subrev_co_ci_u32_e64 v9, s0, s13, v9, vcc_lo
	v_add_co_u32 v10, s0, v7, 2
	s_delay_alu instid0(VALU_DEP_1) | instskip(SKIP_3) | instid1(VALU_DEP_3)
	v_add_co_ci_u32_e64 v14, s0, 0, v8, s0
	v_sub_co_u32 v15, s0, v5, s12
	v_sub_co_ci_u32_e32 v6, vcc_lo, v1, v6, vcc_lo
	v_subrev_co_ci_u32_e64 v9, s0, 0, v9, s0
	v_cmp_le_u32_e32 vcc_lo, s12, v15
	s_delay_alu instid0(VALU_DEP_3) | instskip(SKIP_1) | instid1(VALU_DEP_4)
	v_cmp_eq_u32_e64 s0, s13, v6
	v_cndmask_b32_e64 v15, 0, -1, vcc_lo
	v_cmp_le_u32_e32 vcc_lo, s13, v9
	v_cndmask_b32_e64 v16, 0, -1, vcc_lo
	v_cmp_le_u32_e32 vcc_lo, s12, v5
	;; [unrolled: 2-line block ×3, first 2 shown]
	v_cndmask_b32_e64 v17, 0, -1, vcc_lo
	v_cmp_eq_u32_e32 vcc_lo, s13, v9
	s_delay_alu instid0(VALU_DEP_2) | instskip(SKIP_3) | instid1(VALU_DEP_3)
	v_cndmask_b32_e64 v5, v17, v5, s0
	v_cndmask_b32_e32 v9, v16, v15, vcc_lo
	v_add_co_u32 v15, vcc_lo, v7, 1
	v_add_co_ci_u32_e32 v16, vcc_lo, 0, v8, vcc_lo
	v_cmp_ne_u32_e32 vcc_lo, 0, v9
	s_delay_alu instid0(VALU_DEP_2) | instskip(NEXT) | instid1(VALU_DEP_4)
	v_cndmask_b32_e32 v6, v16, v14, vcc_lo
	v_cndmask_b32_e32 v9, v15, v10, vcc_lo
	v_cmp_ne_u32_e32 vcc_lo, 0, v5
	s_delay_alu instid0(VALU_DEP_2)
	v_dual_cndmask_b32 v6, v8, v6 :: v_dual_cndmask_b32 v5, v7, v9
.LBB8_5:                                ;   in Loop: Header=BB8_3 Depth=1
	s_and_not1_saveexec_b32 s0, s21
; %bb.6:                                ;   in Loop: Header=BB8_3 Depth=1
	v_mul_hi_u32 v5, v0, v13
	s_delay_alu instid0(VALU_DEP_1) | instskip(NEXT) | instid1(VALU_DEP_1)
	v_mul_lo_u32 v6, v5, s12
	v_sub_nc_u32_e32 v6, v0, v6
	s_delay_alu instid0(VALU_DEP_1) | instskip(SKIP_1) | instid1(VALU_DEP_2)
	v_subrev_nc_u32_e32 v8, s12, v6
	v_cmp_le_u32_e32 vcc_lo, s12, v6
	v_dual_cndmask_b32 v6, v6, v8 :: v_dual_add_nc_u32 v7, 1, v5
	s_delay_alu instid0(VALU_DEP_1) | instskip(NEXT) | instid1(VALU_DEP_2)
	v_cndmask_b32_e32 v5, v5, v7, vcc_lo
	v_cmp_le_u32_e32 vcc_lo, s12, v6
	s_delay_alu instid0(VALU_DEP_2) | instskip(NEXT) | instid1(VALU_DEP_1)
	v_dual_mov_b32 v6, v4 :: v_dual_add_nc_u32 v7, 1, v5
	v_cndmask_b32_e32 v5, v5, v7, vcc_lo
; %bb.7:                                ;   in Loop: Header=BB8_3 Depth=1
	s_or_b32 exec_lo, exec_lo, s0
	s_delay_alu instid0(VALU_DEP_2) | instskip(NEXT) | instid1(VALU_DEP_2)
	v_mul_lo_u32 v9, v6, s12
	v_mul_lo_u32 v10, v5, s13
	v_mad_u64_u32 v[7:8], null, v5, s12, 0
	s_cmpk_lt_i32 s20, 0x7a
	s_delay_alu instid0(VALU_DEP_1) | instskip(NEXT) | instid1(VALU_DEP_2)
	v_add3_u32 v8, v8, v10, v9
	v_sub_co_u32 v7, vcc_lo, v0, v7
	s_delay_alu instid0(VALU_DEP_2)
	v_sub_co_ci_u32_e32 v8, vcc_lo, v1, v8, vcc_lo
	s_cbranch_scc1 .LBB8_10
; %bb.8:                                ;   in Loop: Header=BB8_3 Depth=1
	s_mov_b32 s0, 0
	s_cmpk_eq_i32 s20, 0x7a
	s_mov_b32 s21, 0
                                        ; implicit-def: $vgpr9_vgpr10
	s_cbranch_scc0 .LBB8_11
; %bb.9:                                ;   in Loop: Header=BB8_3 Depth=1
	v_lshlrev_b64 v[9:10], 3, v[7:8]
	s_mov_b32 s21, -1
	s_delay_alu instid0(VALU_DEP_1) | instskip(NEXT) | instid1(VALU_DEP_2)
	v_sub_co_u32 v14, vcc_lo, s1, v9
	v_sub_co_ci_u32_e32 v9, vcc_lo, s9, v10, vcc_lo
	s_delay_alu instid0(VALU_DEP_2) | instskip(NEXT) | instid1(VALU_DEP_2)
	v_cvt_f64_u32_e32 v[14:15], v14
	v_cvt_f64_u32_e32 v[9:10], v9
	s_delay_alu instid0(VALU_DEP_1) | instskip(NEXT) | instid1(VALU_DEP_1)
	v_ldexp_f64 v[9:10], v[9:10], 32
	v_add_f64 v[9:10], v[9:10], v[14:15]
	s_delay_alu instid0(VALU_DEP_1) | instskip(SKIP_1) | instid1(VALU_DEP_1)
	v_cmp_gt_f64_e32 vcc_lo, 0x10000000, v[9:10]
	v_cndmask_b32_e64 v14, 0, 1, vcc_lo
	v_lshlrev_b32_e32 v14, 8, v14
	s_delay_alu instid0(VALU_DEP_1) | instskip(NEXT) | instid1(VALU_DEP_1)
	v_ldexp_f64 v[9:10], v[9:10], v14
	v_rsq_f64_e32 v[14:15], v[9:10]
	s_waitcnt_depctr 0xfff
	v_mul_f64 v[16:17], v[9:10], v[14:15]
	v_mul_f64 v[14:15], v[14:15], 0.5
	s_delay_alu instid0(VALU_DEP_1) | instskip(NEXT) | instid1(VALU_DEP_1)
	v_fma_f64 v[18:19], -v[14:15], v[16:17], 0.5
	v_fma_f64 v[16:17], v[16:17], v[18:19], v[16:17]
	v_fma_f64 v[14:15], v[14:15], v[18:19], v[14:15]
	s_delay_alu instid0(VALU_DEP_2) | instskip(NEXT) | instid1(VALU_DEP_1)
	v_fma_f64 v[18:19], -v[16:17], v[16:17], v[9:10]
	v_fma_f64 v[16:17], v[18:19], v[14:15], v[16:17]
	s_delay_alu instid0(VALU_DEP_1) | instskip(NEXT) | instid1(VALU_DEP_1)
	v_fma_f64 v[18:19], -v[16:17], v[16:17], v[9:10]
	v_fma_f64 v[14:15], v[18:19], v[14:15], v[16:17]
	v_cndmask_b32_e64 v16, 0, 0xffffff80, vcc_lo
	v_cmp_class_f64_e64 vcc_lo, v[9:10], 0x260
	v_mul_lo_u32 v17, v5, s5
	s_delay_alu instid0(VALU_DEP_3) | instskip(SKIP_1) | instid1(VALU_DEP_2)
	v_ldexp_f64 v[14:15], v[14:15], v16
	v_mul_lo_u32 v16, v6, s4
	v_dual_cndmask_b32 v10, v15, v10 :: v_dual_cndmask_b32 v9, v14, v9
	s_delay_alu instid0(VALU_DEP_1) | instskip(NEXT) | instid1(VALU_DEP_1)
	v_fma_f64 v[9:10], v[9:10], 0.5, -0.5
	v_floor_f64_e32 v[9:10], v[9:10]
	s_delay_alu instid0(VALU_DEP_1) | instskip(NEXT) | instid1(VALU_DEP_1)
	v_add_f64 v[9:10], v[2:3], -v[9:10]
	v_trunc_f64_e32 v[9:10], v[9:10]
	s_delay_alu instid0(VALU_DEP_1) | instskip(NEXT) | instid1(VALU_DEP_1)
	v_ldexp_f64 v[14:15], v[9:10], 0xffffffe0
	v_floor_f64_e32 v[14:15], v[14:15]
	s_delay_alu instid0(VALU_DEP_1) | instskip(SKIP_1) | instid1(VALU_DEP_2)
	v_fma_f64 v[9:10], 0xc1f00000, v[14:15], v[9:10]
	v_cvt_u32_f64_e32 v15, v[14:15]
	v_cvt_u32_f64_e32 v14, v[9:10]
	v_mad_u64_u32 v[9:10], null, v5, s4, 0
	s_delay_alu instid0(VALU_DEP_3) | instskip(NEXT) | instid1(VALU_DEP_2)
	v_mul_lo_u32 v20, v15, s18
	v_add3_u32 v10, v10, v17, v16
	s_delay_alu instid0(VALU_DEP_1) | instskip(SKIP_4) | instid1(VALU_DEP_4)
	v_lshlrev_b64 v[9:10], 3, v[9:10]
	v_sub_co_u32 v22, vcc_lo, s10, v14
	v_sub_co_ci_u32_e32 v21, vcc_lo, s8, v15, vcc_lo
	v_mul_lo_u32 v23, v14, s19
	v_mad_u64_u32 v[16:17], null, v14, s18, 0
	v_add_co_u32 v24, vcc_lo, v22, -1
	s_delay_alu instid0(VALU_DEP_4) | instskip(SKIP_1) | instid1(VALU_DEP_4)
	v_add_co_ci_u32_e32 v25, vcc_lo, -1, v21, vcc_lo
	v_sub_co_u32 v18, vcc_lo, v7, s2
	v_add3_u32 v17, v17, v23, v20
	s_delay_alu instid0(VALU_DEP_3)
	v_mul_lo_u32 v23, v25, v22
	v_mul_lo_u32 v25, v24, v21
	v_mad_u64_u32 v[20:21], null, v24, v22, 0
	v_subrev_co_ci_u32_e32 v19, vcc_lo, s3, v8, vcc_lo
	v_lshlrev_b64 v[16:17], 3, v[16:17]
	v_add_co_u32 v9, vcc_lo, s6, v9
	v_add_co_ci_u32_e32 v10, vcc_lo, s7, v10, vcc_lo
	s_delay_alu instid0(VALU_DEP_4) | instskip(SKIP_1) | instid1(VALU_DEP_4)
	v_lshlrev_b64 v[18:19], 3, v[18:19]
	v_add3_u32 v21, v21, v25, v23
	v_add_co_u32 v16, vcc_lo, v9, v16
	s_delay_alu instid0(VALU_DEP_4) | instskip(NEXT) | instid1(VALU_DEP_3)
	v_add_co_ci_u32_e32 v17, vcc_lo, v10, v17, vcc_lo
	v_lshlrev_b64 v[9:10], 2, v[20:21]
	v_lshlrev_b64 v[14:15], 3, v[14:15]
	s_delay_alu instid0(VALU_DEP_4) | instskip(NEXT) | instid1(VALU_DEP_4)
	v_add_co_u32 v16, vcc_lo, v16, v18
	v_add_co_ci_u32_e32 v17, vcc_lo, v17, v19, vcc_lo
	s_delay_alu instid0(VALU_DEP_4) | instskip(NEXT) | instid1(VALU_DEP_3)
	v_and_b32_e32 v9, -8, v9
	v_add_co_u32 v14, vcc_lo, v16, v14
	s_delay_alu instid0(VALU_DEP_3) | instskip(NEXT) | instid1(VALU_DEP_2)
	v_add_co_ci_u32_e32 v15, vcc_lo, v17, v15, vcc_lo
	v_add_co_u32 v9, vcc_lo, v14, v9
	s_delay_alu instid0(VALU_DEP_2) | instskip(NEXT) | instid1(VALU_DEP_2)
	v_add_co_ci_u32_e32 v10, vcc_lo, v15, v10, vcc_lo
	v_add_co_u32 v9, vcc_lo, v9, 8
	s_delay_alu instid0(VALU_DEP_2)
	v_add_co_ci_u32_e32 v10, vcc_lo, 0, v10, vcc_lo
	s_branch .LBB8_11
.LBB8_10:                               ;   in Loop: Header=BB8_3 Depth=1
	s_mov_b32 s0, -1
	s_mov_b32 s21, 0
                                        ; implicit-def: $vgpr9_vgpr10
.LBB8_11:                               ;   in Loop: Header=BB8_3 Depth=1
	s_and_b32 vcc_lo, exec_lo, s0
	s_cbranch_vccz .LBB8_14
; %bb.12:                               ;   in Loop: Header=BB8_3 Depth=1
	s_cmpk_eq_i32 s20, 0x79
                                        ; implicit-def: $vgpr9_vgpr10
	s_cbranch_scc0 .LBB8_14
; %bb.13:                               ;   in Loop: Header=BB8_3 Depth=1
	v_lshlrev_b64 v[9:10], 3, v[7:8]
	s_mov_b32 s21, -1
	s_delay_alu instid0(VALU_DEP_1) | instskip(NEXT) | instid1(VALU_DEP_2)
	v_cvt_f64_u32_e32 v[14:15], v10
	v_or_b32_e32 v9, 1, v9
	s_delay_alu instid0(VALU_DEP_1) | instskip(NEXT) | instid1(VALU_DEP_3)
	v_cvt_f64_u32_e32 v[9:10], v9
	v_ldexp_f64 v[14:15], v[14:15], 32
	s_delay_alu instid0(VALU_DEP_1) | instskip(NEXT) | instid1(VALU_DEP_1)
	v_add_f64 v[9:10], v[14:15], v[9:10]
	v_cmp_gt_f64_e32 vcc_lo, 0x10000000, v[9:10]
	v_cndmask_b32_e64 v14, 0, 1, vcc_lo
	s_delay_alu instid0(VALU_DEP_1) | instskip(NEXT) | instid1(VALU_DEP_1)
	v_lshlrev_b32_e32 v14, 8, v14
	v_ldexp_f64 v[9:10], v[9:10], v14
	s_delay_alu instid0(VALU_DEP_1) | instskip(SKIP_3) | instid1(VALU_DEP_1)
	v_rsq_f64_e32 v[14:15], v[9:10]
	s_waitcnt_depctr 0xfff
	v_mul_f64 v[16:17], v[9:10], v[14:15]
	v_mul_f64 v[14:15], v[14:15], 0.5
	v_fma_f64 v[18:19], -v[14:15], v[16:17], 0.5
	s_delay_alu instid0(VALU_DEP_1) | instskip(SKIP_1) | instid1(VALU_DEP_2)
	v_fma_f64 v[16:17], v[16:17], v[18:19], v[16:17]
	v_fma_f64 v[14:15], v[14:15], v[18:19], v[14:15]
	v_fma_f64 v[18:19], -v[16:17], v[16:17], v[9:10]
	s_delay_alu instid0(VALU_DEP_1) | instskip(NEXT) | instid1(VALU_DEP_1)
	v_fma_f64 v[16:17], v[18:19], v[14:15], v[16:17]
	v_fma_f64 v[18:19], -v[16:17], v[16:17], v[9:10]
	s_delay_alu instid0(VALU_DEP_1) | instskip(SKIP_4) | instid1(VALU_DEP_4)
	v_fma_f64 v[14:15], v[18:19], v[14:15], v[16:17]
	v_cndmask_b32_e64 v16, 0, 0xffffff80, vcc_lo
	v_cmp_class_f64_e64 vcc_lo, v[9:10], 0x260
	v_mul_lo_u32 v17, v6, s4
	v_mul_lo_u32 v18, v5, s5
	v_ldexp_f64 v[14:15], v[14:15], v16
	s_delay_alu instid0(VALU_DEP_1) | instskip(NEXT) | instid1(VALU_DEP_1)
	v_dual_cndmask_b32 v10, v15, v10 :: v_dual_cndmask_b32 v9, v14, v9
	v_add_f64 v[9:10], v[9:10], -1.0
	s_delay_alu instid0(VALU_DEP_1) | instskip(NEXT) | instid1(VALU_DEP_1)
	v_mul_f64 v[9:10], v[9:10], 0.5
	v_trunc_f64_e32 v[9:10], v[9:10]
	s_delay_alu instid0(VALU_DEP_1) | instskip(NEXT) | instid1(VALU_DEP_1)
	v_ldexp_f64 v[14:15], v[9:10], 0xffffffe0
	v_floor_f64_e32 v[14:15], v[14:15]
	s_delay_alu instid0(VALU_DEP_1) | instskip(SKIP_1) | instid1(VALU_DEP_2)
	v_fma_f64 v[9:10], 0xc1f00000, v[14:15], v[9:10]
	v_cvt_u32_f64_e32 v15, v[14:15]
	v_cvt_u32_f64_e32 v14, v[9:10]
	v_mad_u64_u32 v[9:10], null, v5, s4, 0
	s_delay_alu instid0(VALU_DEP_3) | instskip(NEXT) | instid1(VALU_DEP_2)
	v_mul_lo_u32 v20, s18, v15
	v_add3_u32 v10, v10, v18, v17
	s_delay_alu instid0(VALU_DEP_1) | instskip(SKIP_4) | instid1(VALU_DEP_3)
	v_lshlrev_b64 v[9:10], 3, v[9:10]
	v_mad_u64_u32 v[5:6], null, v14, v14, v[14:15]
	v_mul_lo_u32 v19, v14, v15
	v_mul_lo_u32 v21, s19, v14
	v_mad_u64_u32 v[15:16], null, s18, v14, s[18:19]
	v_add3_u32 v6, v19, v6, v19
	s_delay_alu instid0(VALU_DEP_2) | instskip(NEXT) | instid1(VALU_DEP_2)
	v_add3_u32 v16, v21, v16, v20
	v_lshrrev_b64 v[5:6], 1, v[5:6]
	s_delay_alu instid0(VALU_DEP_2) | instskip(NEXT) | instid1(VALU_DEP_2)
	v_lshlrev_b64 v[14:15], 3, v[15:16]
	v_sub_co_u32 v5, vcc_lo, v7, v5
	s_delay_alu instid0(VALU_DEP_3) | instskip(SKIP_2) | instid1(VALU_DEP_3)
	v_sub_co_ci_u32_e32 v6, vcc_lo, v8, v6, vcc_lo
	v_add_co_u32 v7, vcc_lo, s6, v9
	v_add_co_ci_u32_e32 v8, vcc_lo, s7, v10, vcc_lo
	v_lshlrev_b64 v[5:6], 3, v[5:6]
	s_delay_alu instid0(VALU_DEP_3) | instskip(NEXT) | instid1(VALU_DEP_3)
	v_add_co_u32 v7, vcc_lo, v7, v14
	v_add_co_ci_u32_e32 v8, vcc_lo, v8, v15, vcc_lo
	s_delay_alu instid0(VALU_DEP_2) | instskip(NEXT) | instid1(VALU_DEP_2)
	v_add_co_u32 v9, vcc_lo, v7, v5
	v_add_co_ci_u32_e32 v10, vcc_lo, v8, v6, vcc_lo
.LBB8_14:                               ;   in Loop: Header=BB8_3 Depth=1
	s_and_b32 vcc_lo, exec_lo, s21
	s_cbranch_vccz .LBB8_2
; %bb.15:                               ;   in Loop: Header=BB8_3 Depth=1
	v_mov_b32_e32 v5, v4
	global_store_b64 v[9:10], v[4:5], off
	s_branch .LBB8_2
.LBB8_16:
	s_nop 0
	s_sendmsg sendmsg(MSG_DEALLOC_VGPRS)
	s_endpgm
	.section	.rodata,"a",@progbits
	.p2align	6, 0x0
	.amdhsa_kernel _ZL18rocblas_trtri_fillILi128E19rocblas_complex_numIfEPS1_EvP15_rocblas_handle13rocblas_fill_ililT1_llii
		.amdhsa_group_segment_fixed_size 0
		.amdhsa_private_segment_fixed_size 0
		.amdhsa_kernarg_size 328
		.amdhsa_user_sgpr_count 14
		.amdhsa_user_sgpr_dispatch_ptr 0
		.amdhsa_user_sgpr_queue_ptr 0
		.amdhsa_user_sgpr_kernarg_segment_ptr 1
		.amdhsa_user_sgpr_dispatch_id 0
		.amdhsa_user_sgpr_private_segment_size 0
		.amdhsa_wavefront_size32 1
		.amdhsa_uses_dynamic_stack 0
		.amdhsa_enable_private_segment 0
		.amdhsa_system_sgpr_workgroup_id_x 1
		.amdhsa_system_sgpr_workgroup_id_y 0
		.amdhsa_system_sgpr_workgroup_id_z 1
		.amdhsa_system_sgpr_workgroup_info 0
		.amdhsa_system_vgpr_workitem_id 0
		.amdhsa_next_free_vgpr 26
		.amdhsa_next_free_sgpr 23
		.amdhsa_reserve_vcc 1
		.amdhsa_float_round_mode_32 0
		.amdhsa_float_round_mode_16_64 0
		.amdhsa_float_denorm_mode_32 3
		.amdhsa_float_denorm_mode_16_64 3
		.amdhsa_dx10_clamp 1
		.amdhsa_ieee_mode 1
		.amdhsa_fp16_overflow 0
		.amdhsa_workgroup_processor_mode 1
		.amdhsa_memory_ordered 1
		.amdhsa_forward_progress 0
		.amdhsa_shared_vgpr_count 0
		.amdhsa_exception_fp_ieee_invalid_op 0
		.amdhsa_exception_fp_denorm_src 0
		.amdhsa_exception_fp_ieee_div_zero 0
		.amdhsa_exception_fp_ieee_overflow 0
		.amdhsa_exception_fp_ieee_underflow 0
		.amdhsa_exception_fp_ieee_inexact 0
		.amdhsa_exception_int_div_zero 0
	.end_amdhsa_kernel
	.section	.text._ZL18rocblas_trtri_fillILi128E19rocblas_complex_numIfEPS1_EvP15_rocblas_handle13rocblas_fill_ililT1_llii,"axG",@progbits,_ZL18rocblas_trtri_fillILi128E19rocblas_complex_numIfEPS1_EvP15_rocblas_handle13rocblas_fill_ililT1_llii,comdat
.Lfunc_end8:
	.size	_ZL18rocblas_trtri_fillILi128E19rocblas_complex_numIfEPS1_EvP15_rocblas_handle13rocblas_fill_ililT1_llii, .Lfunc_end8-_ZL18rocblas_trtri_fillILi128E19rocblas_complex_numIfEPS1_EvP15_rocblas_handle13rocblas_fill_ililT1_llii
                                        ; -- End function
	.section	.AMDGPU.csdata,"",@progbits
; Kernel info:
; codeLenInByte = 2404
; NumSgprs: 25
; NumVgprs: 26
; ScratchSize: 0
; MemoryBound: 0
; FloatMode: 240
; IeeeMode: 1
; LDSByteSize: 0 bytes/workgroup (compile time only)
; SGPRBlocks: 3
; VGPRBlocks: 3
; NumSGPRsForWavesPerEU: 25
; NumVGPRsForWavesPerEU: 26
; Occupancy: 16
; WaveLimiterHint : 0
; COMPUTE_PGM_RSRC2:SCRATCH_EN: 0
; COMPUTE_PGM_RSRC2:USER_SGPR: 14
; COMPUTE_PGM_RSRC2:TRAP_HANDLER: 0
; COMPUTE_PGM_RSRC2:TGID_X_EN: 1
; COMPUTE_PGM_RSRC2:TGID_Y_EN: 0
; COMPUTE_PGM_RSRC2:TGID_Z_EN: 1
; COMPUTE_PGM_RSRC2:TIDIG_COMP_CNT: 0
	.section	.text._ZL26rocblas_trtri_small_kernelILi16E19rocblas_complex_numIfEPKS1_PS1_Ev13rocblas_fill_17rocblas_diagonal_iT1_lillT2_lilli,"axG",@progbits,_ZL26rocblas_trtri_small_kernelILi16E19rocblas_complex_numIfEPKS1_PS1_Ev13rocblas_fill_17rocblas_diagonal_iT1_lillT2_lilli,comdat
	.globl	_ZL26rocblas_trtri_small_kernelILi16E19rocblas_complex_numIfEPKS1_PS1_Ev13rocblas_fill_17rocblas_diagonal_iT1_lillT2_lilli ; -- Begin function _ZL26rocblas_trtri_small_kernelILi16E19rocblas_complex_numIfEPKS1_PS1_Ev13rocblas_fill_17rocblas_diagonal_iT1_lillT2_lilli
	.p2align	8
	.type	_ZL26rocblas_trtri_small_kernelILi16E19rocblas_complex_numIfEPKS1_PS1_Ev13rocblas_fill_17rocblas_diagonal_iT1_lillT2_lilli,@function
_ZL26rocblas_trtri_small_kernelILi16E19rocblas_complex_numIfEPKS1_PS1_Ev13rocblas_fill_17rocblas_diagonal_iT1_lillT2_lilli: ; @_ZL26rocblas_trtri_small_kernelILi16E19rocblas_complex_numIfEPKS1_PS1_Ev13rocblas_fill_17rocblas_diagonal_iT1_lillT2_lilli
; %bb.0:
	s_load_b128 s[16:19], s[0:1], 0x0
	s_waitcnt lgkmcnt(0)
	s_cmp_lt_i32 s18, 1
	s_cbranch_scc1 .LBB9_53
; %bb.1:
	s_load_b256 s[4:11], s[0:1], 0x28
	v_cmp_le_u32_e64 s3, s18, v0
	v_cmp_gt_u32_e64 s2, s18, v0
	s_delay_alu instid0(VALU_DEP_1)
	s_and_saveexec_b32 s19, s2
	s_cbranch_execz .LBB9_14
; %bb.2:
	s_clause 0x1
	s_load_b128 s[20:23], s[0:1], 0x10
	s_load_b32 s12, s[0:1], 0x20
	s_waitcnt lgkmcnt(0)
	s_mul_i32 s5, s15, s5
	s_mul_hi_u32 s13, s15, s4
	s_mul_i32 s24, s15, s4
	s_add_i32 s25, s13, s5
	s_mul_i32 s5, s14, s7
	s_mul_hi_u32 s7, s14, s6
	s_mul_i32 s6, s14, s6
	s_add_i32 s7, s7, s5
	s_cmpk_lg_i32 s16, 0x7a
	s_mov_b32 s4, -1
	s_cbranch_scc0 .LBB9_6
; %bb.3:
	s_ashr_i32 s13, s12, 31
	s_lshl_b32 s5, s18, 3
	s_ashr_i32 s4, s18, 31
	s_add_u32 s26, s18, -1
	s_addc_u32 s4, s4, -1
	s_mul_i32 s27, s26, s13
	s_mul_hi_u32 s28, s26, s12
	s_mul_i32 s4, s4, s12
	s_add_i32 s27, s28, s27
	s_mul_i32 s26, s26, s12
	s_add_i32 s27, s27, s4
	s_lshl_b64 s[28:29], s[6:7], 3
	s_lshl_b64 s[26:27], s[26:27], 3
	v_lshlrev_b32_e32 v1, 3, v0
	s_add_u32 s4, s26, s28
	s_addc_u32 s28, s27, s29
	s_lshl_b64 s[26:27], s[24:25], 3
	s_delay_alu instid0(SALU_CYCLE_1)
	s_add_u32 s4, s4, s26
	s_addc_u32 s28, s28, s27
	s_lshl_b64 s[26:27], s[22:23], 3
	v_sub_nc_u32_e32 v2, s5, v1
	s_add_u32 s4, s4, s26
	s_addc_u32 s26, s28, s27
	s_add_u32 s4, s20, s4
	s_addc_u32 s28, s21, s26
	v_add_co_u32 v1, s4, s4, v1
	v_add_nc_u32_e32 v3, -8, v2
	s_lshl_b64 s[26:27], s[12:13], 3
	v_add_co_ci_u32_e64 v2, null, s28, 0, s4
	s_sub_u32 s13, 0, s26
	s_subb_u32 s27, 0, s27
	s_mov_b32 s26, 0
	s_mov_b32 s28, s18
.LBB9_4:                                ; =>This Inner Loop Header: Depth=1
	global_load_b64 v[4:5], v[1:2], off
	s_add_i32 s28, s28, -1
	v_add_co_u32 v1, vcc_lo, v1, s13
	v_cmp_le_i32_e64 s4, s28, v0
	v_add_co_ci_u32_e32 v2, vcc_lo, s27, v2, vcc_lo
	s_delay_alu instid0(VALU_DEP_2)
	s_or_b32 s26, s4, s26
	s_waitcnt vmcnt(0)
	ds_store_b64 v3, v[4:5]
	v_add_nc_u32_e32 v3, s5, v3
	s_and_not1_b32 exec_lo, exec_lo, s26
	s_cbranch_execnz .LBB9_4
; %bb.5:
	s_or_b32 exec_lo, exec_lo, s26
	s_mov_b32 s4, 0
.LBB9_6:
	s_delay_alu instid0(SALU_CYCLE_1)
	s_and_b32 vcc_lo, exec_lo, s4
	s_cbranch_vccz .LBB9_14
; %bb.7:
	v_dual_mov_b32 v3, 0 :: v_dual_add_nc_u32 v4, 1, v0
	s_ashr_i32 s13, s12, 31
	s_mov_b32 s5, exec_lo
	v_cmpx_lt_u32_e32 2, v0
	s_cbranch_execz .LBB9_11
; %bb.8:
	s_lshl_b64 s[26:27], s[24:25], 3
	v_lshlrev_b32_e32 v5, 3, v0
	s_add_u32 s4, s20, s26
	s_addc_u32 s28, s21, s27
	s_lshl_b64 s[26:27], s[22:23], 3
	v_and_b32_e32 v3, 28, v4
	s_add_u32 s4, s4, s26
	s_addc_u32 s28, s28, s27
	s_lshl_b64 s[26:27], s[6:7], 3
	s_mul_hi_i32 s33, s12, 24
	s_add_u32 s4, s4, s26
	s_addc_u32 s26, s28, s27
	v_add_co_u32 v1, s4, s4, v5
	s_delay_alu instid0(VALU_DEP_1)
	v_add_co_ci_u32_e64 v2, null, s26, 0, s4
	s_mul_i32 s34, s12, 24
	s_lshl_b64 s[26:27], s[12:13], 5
	s_lshl_b64 s[28:29], s[12:13], 4
	s_lshl_b64 s[30:31], s[12:13], 3
	s_lshl_b32 s35, s18, 3
	s_lshl_b32 s36, s18, 5
	;; [unrolled: 1-line block ×3, first 2 shown]
	s_mul_i32 s39, s18, 24
	s_mov_b32 s38, 0
	s_mov_b32 s40, 0
	s_set_inst_prefetch_distance 0x1
	.p2align	6
.LBB9_9:                                ; =>This Inner Loop Header: Depth=1
	v_add_co_u32 v6, vcc_lo, v1, s30
	v_add_co_ci_u32_e32 v7, vcc_lo, s31, v2, vcc_lo
	v_add_co_u32 v8, vcc_lo, v1, s28
	v_add_co_ci_u32_e32 v9, vcc_lo, s29, v2, vcc_lo
	;; [unrolled: 2-line block ×3, first 2 shown]
	s_clause 0x3
	global_load_b64 v[12:13], v[1:2], off
	global_load_b64 v[6:7], v[6:7], off
	;; [unrolled: 1-line block ×4, first 2 shown]
	s_add_i32 s40, s40, 4
	v_add_co_u32 v1, s4, v1, s26
	v_cmp_eq_u32_e32 vcc_lo, s40, v3
	v_add_nc_u32_e32 v14, s35, v5
	v_add_nc_u32_e32 v15, s37, v5
	;; [unrolled: 1-line block ×3, first 2 shown]
	v_add_co_ci_u32_e64 v2, s4, s27, v2, s4
	s_or_b32 s38, vcc_lo, s38
	s_waitcnt vmcnt(3)
	ds_store_b64 v5, v[12:13]
	v_add_nc_u32_e32 v5, s36, v5
	s_waitcnt vmcnt(2)
	ds_store_b64 v14, v[6:7]
	s_waitcnt vmcnt(1)
	ds_store_b64 v15, v[8:9]
	;; [unrolled: 2-line block ×3, first 2 shown]
	s_and_not1_b32 exec_lo, exec_lo, s38
	s_cbranch_execnz .LBB9_9
; %bb.10:
	s_set_inst_prefetch_distance 0x2
	s_or_b32 exec_lo, exec_lo, s38
.LBB9_11:
	s_delay_alu instid0(SALU_CYCLE_1) | instskip(SKIP_2) | instid1(VALU_DEP_1)
	s_or_b32 exec_lo, exec_lo, s5
	v_and_b32_e32 v4, 3, v4
	s_mov_b32 s5, 0
	v_cmp_ne_u32_e32 vcc_lo, 0, v4
	s_and_b32 exec_lo, exec_lo, vcc_lo
	s_cbranch_execz .LBB9_14
; %bb.12:
	v_mad_i64_i32 v[1:2], null, s12, v3, 0
	s_lshl_b64 s[6:7], s[6:7], 3
	s_lshl_b64 s[26:27], s[24:25], 3
	s_lshl_b32 s24, s18, 3
	s_add_u32 s4, s6, s26
	s_addc_u32 s25, s7, s27
	s_lshl_b64 s[6:7], s[22:23], 3
	s_delay_alu instid0(VALU_DEP_1) | instskip(SKIP_4) | instid1(VALU_DEP_3)
	v_lshlrev_b64 v[1:2], 3, v[1:2]
	s_add_u32 s4, s6, s4
	v_lshlrev_b32_e32 v5, 3, v0
	s_addc_u32 s6, s7, s25
	v_mul_lo_u32 v3, v3, s18
	v_add_co_u32 v1, vcc_lo, s4, v1
	v_add_co_ci_u32_e32 v2, vcc_lo, s6, v2, vcc_lo
	s_lshl_b64 s[6:7], s[12:13], 3
	s_delay_alu instid0(VALU_DEP_2) | instskip(NEXT) | instid1(VALU_DEP_2)
	v_add_co_u32 v1, vcc_lo, v1, v5
	v_add_co_ci_u32_e32 v2, vcc_lo, 0, v2, vcc_lo
	v_add_lshl_u32 v3, v0, v3, 3
	s_delay_alu instid0(VALU_DEP_3) | instskip(NEXT) | instid1(VALU_DEP_3)
	v_add_co_u32 v1, vcc_lo, s20, v1
	v_add_co_ci_u32_e32 v2, vcc_lo, s21, v2, vcc_lo
.LBB9_13:                               ; =>This Inner Loop Header: Depth=1
	global_load_b64 v[5:6], v[1:2], off
	v_add_nc_u32_e32 v4, -1, v4
	v_add_co_u32 v1, vcc_lo, v1, s6
	v_add_co_ci_u32_e32 v2, vcc_lo, s7, v2, vcc_lo
	s_delay_alu instid0(VALU_DEP_3) | instskip(NEXT) | instid1(VALU_DEP_1)
	v_cmp_eq_u32_e64 s4, 0, v4
	s_or_b32 s5, s4, s5
	s_waitcnt vmcnt(0)
	ds_store_b64 v3, v[5:6]
	v_add_nc_u32_e32 v3, s24, v3
	s_and_not1_b32 exec_lo, exec_lo, s5
	s_cbranch_execnz .LBB9_13
.LBB9_14:
	s_or_b32 exec_lo, exec_lo, s19
	s_waitcnt vmcnt(0) lgkmcnt(0)
	s_waitcnt_vscnt null, 0x0
	; wave barrier
	s_waitcnt lgkmcnt(0)
	buffer_gl0_inv
                                        ; implicit-def: $vgpr1
	s_and_saveexec_b32 s4, s3
	s_delay_alu instid0(SALU_CYCLE_1)
	s_xor_b32 s3, exec_lo, s4
; %bb.15:
	v_mad_u64_u32 v[1:2], null, v0, s18, v[0:1]
; %bb.16:
	s_and_not1_saveexec_b32 s4, s3
	s_cbranch_execz .LBB9_29
; %bb.17:
	s_delay_alu instid0(VALU_DEP_1) | instskip(SKIP_1) | instid1(VALU_DEP_1)
	v_mad_u64_u32 v[1:2], null, v0, s18, v[0:1]
	s_cmpk_lg_i32 s17, 0x84
	v_lshlrev_b32_e32 v6, 3, v1
	s_cbranch_scc0 .LBB9_27
; %bb.18:
	ds_load_b64 v[2:3], v6
	s_waitcnt lgkmcnt(0)
	v_cmp_neq_f32_e32 vcc_lo, 0, v2
	v_cmp_neq_f32_e64 s3, 0, v3
	s_delay_alu instid0(VALU_DEP_1) | instskip(NEXT) | instid1(SALU_CYCLE_1)
	s_or_b32 s3, vcc_lo, s3
	s_and_saveexec_b32 s5, s3
	s_delay_alu instid0(SALU_CYCLE_1)
	s_xor_b32 s3, exec_lo, s5
	s_cbranch_execz .LBB9_24
; %bb.19:
	v_cmp_gt_f32_e32 vcc_lo, 0, v2
	v_cndmask_b32_e64 v4, v2, -v2, vcc_lo
	v_cmp_gt_f32_e32 vcc_lo, 0, v3
	v_cndmask_b32_e64 v5, v3, -v3, vcc_lo
	s_delay_alu instid0(VALU_DEP_1) | instskip(SKIP_1) | instid1(SALU_CYCLE_1)
	v_cmp_ngt_f32_e32 vcc_lo, v4, v5
                                        ; implicit-def: $vgpr4
	s_and_saveexec_b32 s5, vcc_lo
	s_xor_b32 s5, exec_lo, s5
	s_cbranch_execz .LBB9_21
; %bb.20:
	v_div_scale_f32 v4, null, v3, v3, v2
	v_div_scale_f32 v8, vcc_lo, v2, v3, v2
	s_delay_alu instid0(VALU_DEP_2) | instskip(SKIP_2) | instid1(VALU_DEP_1)
	v_rcp_f32_e32 v5, v4
	s_waitcnt_depctr 0xfff
	v_fma_f32 v7, -v4, v5, 1.0
	v_fmac_f32_e32 v5, v7, v5
	s_delay_alu instid0(VALU_DEP_1) | instskip(NEXT) | instid1(VALU_DEP_1)
	v_mul_f32_e32 v7, v8, v5
	v_fma_f32 v9, -v4, v7, v8
	s_delay_alu instid0(VALU_DEP_1) | instskip(NEXT) | instid1(VALU_DEP_1)
	v_fmac_f32_e32 v7, v9, v5
	v_fma_f32 v4, -v4, v7, v8
	s_delay_alu instid0(VALU_DEP_1) | instskip(NEXT) | instid1(VALU_DEP_1)
	v_div_fmas_f32 v4, v4, v5, v7
	v_div_fixup_f32 v4, v4, v3, v2
	s_delay_alu instid0(VALU_DEP_1) | instskip(NEXT) | instid1(VALU_DEP_1)
	v_fmac_f32_e32 v3, v2, v4
	v_div_scale_f32 v2, null, v3, v3, 1.0
	v_div_scale_f32 v8, vcc_lo, 1.0, v3, 1.0
	s_delay_alu instid0(VALU_DEP_2) | instskip(SKIP_2) | instid1(VALU_DEP_1)
	v_rcp_f32_e32 v5, v2
	s_waitcnt_depctr 0xfff
	v_fma_f32 v7, -v2, v5, 1.0
	v_fmac_f32_e32 v5, v7, v5
	s_delay_alu instid0(VALU_DEP_1) | instskip(NEXT) | instid1(VALU_DEP_1)
	v_mul_f32_e32 v7, v8, v5
	v_fma_f32 v9, -v2, v7, v8
	s_delay_alu instid0(VALU_DEP_1) | instskip(NEXT) | instid1(VALU_DEP_1)
	v_fmac_f32_e32 v7, v9, v5
	v_fma_f32 v2, -v2, v7, v8
	s_delay_alu instid0(VALU_DEP_1) | instskip(NEXT) | instid1(VALU_DEP_1)
	v_div_fmas_f32 v2, v2, v5, v7
	v_div_fixup_f32 v2, v2, v3, 1.0
	s_delay_alu instid0(VALU_DEP_1)
	v_mul_f32_e32 v4, v4, v2
	v_xor_b32_e32 v5, 0x80000000, v2
                                        ; implicit-def: $vgpr2_vgpr3
.LBB9_21:
	s_and_not1_saveexec_b32 s5, s5
	s_cbranch_execz .LBB9_23
; %bb.22:
	v_div_scale_f32 v4, null, v2, v2, v3
	v_div_scale_f32 v8, vcc_lo, v3, v2, v3
	s_delay_alu instid0(VALU_DEP_2) | instskip(SKIP_2) | instid1(VALU_DEP_1)
	v_rcp_f32_e32 v5, v4
	s_waitcnt_depctr 0xfff
	v_fma_f32 v7, -v4, v5, 1.0
	v_fmac_f32_e32 v5, v7, v5
	s_delay_alu instid0(VALU_DEP_1) | instskip(NEXT) | instid1(VALU_DEP_1)
	v_mul_f32_e32 v7, v8, v5
	v_fma_f32 v9, -v4, v7, v8
	s_delay_alu instid0(VALU_DEP_1) | instskip(NEXT) | instid1(VALU_DEP_1)
	v_fmac_f32_e32 v7, v9, v5
	v_fma_f32 v4, -v4, v7, v8
	s_delay_alu instid0(VALU_DEP_1) | instskip(NEXT) | instid1(VALU_DEP_1)
	v_div_fmas_f32 v4, v4, v5, v7
	v_div_fixup_f32 v5, v4, v2, v3
	s_delay_alu instid0(VALU_DEP_1) | instskip(NEXT) | instid1(VALU_DEP_1)
	v_fmac_f32_e32 v2, v3, v5
	v_div_scale_f32 v3, null, v2, v2, 1.0
	s_delay_alu instid0(VALU_DEP_1) | instskip(SKIP_2) | instid1(VALU_DEP_1)
	v_rcp_f32_e32 v4, v3
	s_waitcnt_depctr 0xfff
	v_fma_f32 v7, -v3, v4, 1.0
	v_fmac_f32_e32 v4, v7, v4
	v_div_scale_f32 v7, vcc_lo, 1.0, v2, 1.0
	s_delay_alu instid0(VALU_DEP_1) | instskip(NEXT) | instid1(VALU_DEP_1)
	v_mul_f32_e32 v8, v7, v4
	v_fma_f32 v9, -v3, v8, v7
	s_delay_alu instid0(VALU_DEP_1) | instskip(NEXT) | instid1(VALU_DEP_1)
	v_fmac_f32_e32 v8, v9, v4
	v_fma_f32 v3, -v3, v8, v7
	s_delay_alu instid0(VALU_DEP_1) | instskip(NEXT) | instid1(VALU_DEP_1)
	v_div_fmas_f32 v3, v3, v4, v8
	v_div_fixup_f32 v4, v3, v2, 1.0
	s_delay_alu instid0(VALU_DEP_1)
	v_mul_f32_e64 v5, v5, -v4
.LBB9_23:
	s_or_b32 exec_lo, exec_lo, s5
	ds_store_b64 v6, v[4:5]
.LBB9_24:
	s_and_not1_saveexec_b32 s3, s3
	s_cbranch_execz .LBB9_26
; %bb.25:
	v_dual_mov_b32 v2, 1.0 :: v_dual_mov_b32 v3, 0
	ds_store_b64 v6, v[2:3]
.LBB9_26:
	s_or_b32 exec_lo, exec_lo, s3
	s_cbranch_execz .LBB9_28
	s_branch .LBB9_29
.LBB9_27:
.LBB9_28:
	v_dual_mov_b32 v2, 1.0 :: v_dual_mov_b32 v3, 0
	ds_store_b64 v6, v[2:3]
.LBB9_29:
	s_or_b32 exec_lo, exec_lo, s4
	s_delay_alu instid0(VALU_DEP_1)
	v_lshlrev_b32_e32 v1, 3, v1
	v_add_lshl_u32 v2, v0, s18, 3
	s_lshl_b32 s19, s18, 3
	s_mov_b32 s3, 8
	s_add_i32 s4, s19, 8
	s_mov_b32 s5, 0
	s_waitcnt vmcnt(0) lgkmcnt(0)
	s_waitcnt_vscnt null, 0x0
	; wave barrier
	s_waitcnt lgkmcnt(0)
	buffer_gl0_inv
	s_branch .LBB9_31
.LBB9_30:                               ;   in Loop: Header=BB9_31 Depth=1
	s_set_inst_prefetch_distance 0x2
	v_add_nc_u32_e32 v2, s19, v2
	s_add_i32 s3, s3, s4
	s_cmp_eq_u32 s5, s18
	s_waitcnt vmcnt(0) lgkmcnt(0)
	s_waitcnt_vscnt null, 0x0
	; wave barrier
	buffer_gl0_inv
	s_cbranch_scc1 .LBB9_40
.LBB9_31:                               ; =>This Loop Header: Depth=1
                                        ;     Child Loop BB9_36 Depth 2
	s_mul_i32 s7, s5, s18
	v_dual_mov_b32 v4, 0 :: v_dual_mov_b32 v5, 0
	v_add_lshl_u32 v3, s7, v0, 3
	s_mov_b32 s6, exec_lo
	v_cmpx_lt_u32_e64 s5, v0
	s_cbranch_execz .LBB9_33
; %bb.32:                               ;   in Loop: Header=BB9_31 Depth=1
	s_add_i32 s7, s7, s5
	s_delay_alu instid0(SALU_CYCLE_1) | instskip(NEXT) | instid1(SALU_CYCLE_1)
	s_lshl_b32 s7, s7, 3
	v_mov_b32_e32 v6, s7
	ds_load_b64 v[4:5], v3
	ds_load_b64 v[6:7], v6
	s_waitcnt lgkmcnt(0)
	v_mul_f32_e32 v8, v7, v5
	v_mul_f32_e32 v5, v6, v5
	s_delay_alu instid0(VALU_DEP_2) | instskip(NEXT) | instid1(VALU_DEP_1)
	v_fma_f32 v6, v6, v4, -v8
	v_dual_fmac_f32 v5, v7, v4 :: v_dual_add_f32 v4, 0, v6
	s_delay_alu instid0(VALU_DEP_1)
	v_add_f32_e32 v5, 0, v5
.LBB9_33:                               ;   in Loop: Header=BB9_31 Depth=1
	s_or_b32 exec_lo, exec_lo, s6
	s_add_i32 s5, s5, 1
	s_delay_alu instid0(SALU_CYCLE_1)
	s_cmp_ge_i32 s5, s18
	; wave barrier
	buffer_gl0_inv
	s_cbranch_scc1 .LBB9_30
; %bb.34:                               ;   in Loop: Header=BB9_31 Depth=1
	v_mov_b32_e32 v6, v2
	s_mov_b32 s6, s3
	s_mov_b32 s7, s5
	s_set_inst_prefetch_distance 0x1
	s_branch .LBB9_36
	.p2align	6
.LBB9_35:                               ;   in Loop: Header=BB9_36 Depth=2
	s_or_b32 exec_lo, exec_lo, s12
	v_add_nc_u32_e32 v6, s19, v6
	s_add_i32 s7, s7, 1
	s_add_i32 s6, s6, 8
	s_cmp_ge_i32 s7, s18
	s_waitcnt vmcnt(0) lgkmcnt(0)
	s_waitcnt_vscnt null, 0x0
	; wave barrier
	buffer_gl0_inv
	s_cbranch_scc1 .LBB9_30
.LBB9_36:                               ;   Parent Loop BB9_31 Depth=1
                                        ; =>  This Inner Loop Header: Depth=2
	s_mov_b32 s12, exec_lo
	v_cmpx_eq_u32_e64 s7, v0
	s_cbranch_execz .LBB9_38
; %bb.37:                               ;   in Loop: Header=BB9_36 Depth=2
	ds_load_b64 v[7:8], v1
	s_waitcnt lgkmcnt(0)
	v_dual_sub_f32 v10, 0, v4 :: v_dual_mul_f32 v11, v5, v7
	v_mul_f32_e32 v9, v5, v8
	s_delay_alu instid0(VALU_DEP_1) | instskip(NEXT) | instid1(VALU_DEP_3)
	v_fmac_f32_e32 v9, v10, v7
	v_fma_f32 v10, -v4, v8, -v11
	ds_store_b64 v3, v[9:10]
.LBB9_38:                               ;   in Loop: Header=BB9_36 Depth=2
	s_or_b32 exec_lo, exec_lo, s12
	s_delay_alu instid0(SALU_CYCLE_1)
	s_mov_b32 s12, exec_lo
	s_waitcnt vmcnt(0) lgkmcnt(0)
	s_waitcnt_vscnt null, 0x0
	; wave barrier
	s_waitcnt lgkmcnt(0)
	buffer_gl0_inv
	v_cmpx_lt_u32_e64 s7, v0
	s_cbranch_execz .LBB9_35
; %bb.39:                               ;   in Loop: Header=BB9_36 Depth=2
	v_mov_b32_e32 v9, s6
	ds_load_b64 v[7:8], v6
	ds_load_b64 v[9:10], v9
	s_waitcnt lgkmcnt(0)
	v_mul_f32_e32 v11, v10, v8
	v_mul_f32_e32 v8, v9, v8
	s_delay_alu instid0(VALU_DEP_2) | instskip(NEXT) | instid1(VALU_DEP_2)
	v_fma_f32 v9, v9, v7, -v11
	v_fmac_f32_e32 v8, v10, v7
	s_delay_alu instid0(VALU_DEP_1)
	v_dual_add_f32 v4, v4, v9 :: v_dual_add_f32 v5, v5, v8
	s_branch .LBB9_35
.LBB9_40:
	s_and_saveexec_b32 s3, s2
	s_cbranch_execz .LBB9_53
; %bb.41:
	s_clause 0x1
	s_load_b128 s[4:7], s[0:1], 0x50
	s_load_b32 s2, s[0:1], 0x48
	v_lshlrev_b32_e32 v3, 3, v0
	s_waitcnt lgkmcnt(0)
	s_mul_i32 s0, s15, s5
	s_mul_hi_u32 s1, s15, s4
	s_mul_i32 s3, s14, s7
	s_mul_hi_u32 s7, s14, s6
	s_add_i32 s5, s1, s0
	s_add_i32 s7, s7, s3
	s_mul_i32 s4, s15, s4
	s_mul_i32 s6, s14, s6
	s_cmpk_lg_i32 s16, 0x7a
	s_mov_b32 s0, -1
	s_cbranch_scc0 .LBB9_45
; %bb.42:
	s_add_i32 s14, s18, -1
	s_lshl_b64 s[0:1], s[6:7], 3
	s_lshl_b64 s[12:13], s[4:5], 3
	s_ashr_i32 s3, s2, 31
	s_add_u32 s12, s0, s12
	s_mul_i32 s0, s3, s14
	s_mul_hi_u32 s15, s2, s14
	s_addc_u32 s13, s1, s13
	s_add_i32 s1, s15, s0
	s_mul_i32 s0, s2, s14
	v_lshlrev_b32_e32 v1, 3, v0
	s_lshl_b64 s[0:1], s[0:1], 3
	s_delay_alu instid0(SALU_CYCLE_1)
	s_add_u32 s12, s12, s0
	s_addc_u32 s13, s13, s1
	s_lshl_b64 s[0:1], s[10:11], 3
	v_sub_nc_u32_e32 v4, s19, v1
	s_add_u32 s0, s12, s0
	s_addc_u32 s1, s13, s1
	s_add_u32 s0, s8, s0
	s_addc_u32 s1, s9, s1
	v_add_co_u32 v1, s0, s0, v1
	s_lshl_b64 s[12:13], s[2:3], 3
	v_add_co_ci_u32_e64 v2, null, s1, 0, s0
	v_add_nc_u32_e32 v4, -8, v4
	s_sub_u32 s1, 0, s12
	s_subb_u32 s12, 0, s13
	s_mov_b32 s3, 0
	s_mov_b32 s13, s18
.LBB9_43:                               ; =>This Inner Loop Header: Depth=1
	ds_load_b64 v[5:6], v4
	s_add_i32 s13, s13, -1
	v_add_nc_u32_e32 v4, s19, v4
	v_cmp_le_i32_e32 vcc_lo, s13, v0
	s_or_b32 s3, vcc_lo, s3
	s_waitcnt lgkmcnt(0)
	global_store_b64 v[1:2], v[5:6], off
	v_add_co_u32 v1, s0, v1, s1
	s_delay_alu instid0(VALU_DEP_1)
	v_add_co_ci_u32_e64 v2, s0, s12, v2, s0
	s_and_not1_b32 exec_lo, exec_lo, s3
	s_cbranch_execnz .LBB9_43
; %bb.44:
	s_or_b32 exec_lo, exec_lo, s3
	s_mov_b32 s0, 0
.LBB9_45:
	s_delay_alu instid0(SALU_CYCLE_1)
	s_and_b32 vcc_lo, exec_lo, s0
	s_cbranch_vccz .LBB9_53
; %bb.46:
	v_dual_mov_b32 v4, 0 :: v_dual_add_nc_u32 v5, 1, v0
	s_ashr_i32 s3, s2, 31
	s_mov_b32 s1, exec_lo
	v_cmpx_lt_u32_e32 2, v0
	s_cbranch_execz .LBB9_50
; %bb.47:
	s_lshl_b64 s[12:13], s[4:5], 3
	v_and_b32_e32 v4, 28, v5
	s_add_u32 s0, s8, s12
	s_addc_u32 s14, s9, s13
	s_lshl_b64 s[12:13], s[10:11], 3
	v_mov_b32_e32 v6, v3
	s_add_u32 s0, s0, s12
	s_addc_u32 s14, s14, s13
	s_lshl_b64 s[12:13], s[6:7], 3
	s_mul_hi_i32 s20, s2, 24
	s_add_u32 s0, s0, s12
	s_addc_u32 s12, s14, s13
	v_add_co_u32 v1, s0, s0, v3
	s_delay_alu instid0(VALU_DEP_1)
	v_add_co_ci_u32_e64 v2, null, s12, 0, s0
	s_mul_i32 s21, s2, 24
	s_lshl_b64 s[12:13], s[2:3], 5
	s_lshl_b64 s[14:15], s[2:3], 4
	;; [unrolled: 1-line block ×3, first 2 shown]
	s_lshl_b32 s22, s18, 5
	s_lshl_b32 s23, s18, 4
	s_mul_i32 s25, s18, 24
	s_mov_b32 s24, 0
	s_mov_b32 s26, 0
	s_set_inst_prefetch_distance 0x1
	.p2align	6
.LBB9_48:                               ; =>This Inner Loop Header: Depth=1
	ds_load_b64 v[7:8], v6
	v_add_nc_u32_e32 v11, s19, v6
	v_add_nc_u32_e32 v13, s23, v6
	v_add_nc_u32_e32 v15, s25, v6
	v_add_co_u32 v9, vcc_lo, v1, s16
	ds_load_b64 v[11:12], v11
	ds_load_b64 v[13:14], v13
	;; [unrolled: 1-line block ×3, first 2 shown]
	v_add_co_ci_u32_e32 v10, vcc_lo, s17, v2, vcc_lo
	v_add_co_u32 v17, vcc_lo, v1, s14
	v_add_co_ci_u32_e32 v18, vcc_lo, s15, v2, vcc_lo
	v_add_co_u32 v19, vcc_lo, v1, s21
	s_add_i32 s26, s26, 4
	v_add_co_ci_u32_e32 v20, vcc_lo, s20, v2, vcc_lo
	v_cmp_eq_u32_e32 vcc_lo, s26, v4
	v_add_nc_u32_e32 v6, s22, v6
	s_waitcnt lgkmcnt(3)
	global_store_b64 v[1:2], v[7:8], off
	v_add_co_u32 v1, s0, v1, s12
	s_delay_alu instid0(VALU_DEP_1)
	v_add_co_ci_u32_e64 v2, s0, s13, v2, s0
	s_or_b32 s24, vcc_lo, s24
	s_waitcnt lgkmcnt(2)
	global_store_b64 v[9:10], v[11:12], off
	s_waitcnt lgkmcnt(1)
	global_store_b64 v[17:18], v[13:14], off
	;; [unrolled: 2-line block ×3, first 2 shown]
	s_and_not1_b32 exec_lo, exec_lo, s24
	s_cbranch_execnz .LBB9_48
; %bb.49:
	s_set_inst_prefetch_distance 0x2
	s_or_b32 exec_lo, exec_lo, s24
.LBB9_50:
	s_delay_alu instid0(SALU_CYCLE_1) | instskip(SKIP_2) | instid1(VALU_DEP_1)
	s_or_b32 exec_lo, exec_lo, s1
	v_and_b32_e32 v5, 3, v5
	s_mov_b32 s1, 0
	v_cmp_ne_u32_e32 vcc_lo, 0, v5
	s_and_b32 exec_lo, exec_lo, vcc_lo
	s_cbranch_execz .LBB9_53
; %bb.51:
	v_mad_i64_i32 v[1:2], null, s2, v4, 0
	s_lshl_b64 s[6:7], s[6:7], 3
	s_lshl_b64 s[4:5], s[4:5], 3
	v_mul_lo_u32 v4, v4, s18
	s_add_u32 s0, s6, s4
	s_addc_u32 s6, s7, s5
	s_lshl_b64 s[4:5], s[10:11], 3
	s_delay_alu instid0(VALU_DEP_2) | instskip(SKIP_4) | instid1(VALU_DEP_2)
	v_lshlrev_b64 v[1:2], 3, v[1:2]
	s_add_u32 s0, s4, s0
	s_addc_u32 s4, s5, s6
	s_lshl_b64 s[2:3], s[2:3], 3
	v_add_lshl_u32 v0, v0, v4, 3
	v_add_co_u32 v1, vcc_lo, s0, v1
	v_add_co_ci_u32_e32 v2, vcc_lo, s4, v2, vcc_lo
	s_delay_alu instid0(VALU_DEP_2) | instskip(NEXT) | instid1(VALU_DEP_2)
	v_add_co_u32 v1, vcc_lo, v1, v3
	v_add_co_ci_u32_e32 v2, vcc_lo, 0, v2, vcc_lo
	s_delay_alu instid0(VALU_DEP_2) | instskip(NEXT) | instid1(VALU_DEP_2)
	v_add_co_u32 v1, vcc_lo, s8, v1
	v_add_co_ci_u32_e32 v2, vcc_lo, s9, v2, vcc_lo
.LBB9_52:                               ; =>This Inner Loop Header: Depth=1
	ds_load_b64 v[3:4], v0
	v_add_nc_u32_e32 v5, -1, v5
	v_add_nc_u32_e32 v0, s19, v0
	s_delay_alu instid0(VALU_DEP_2) | instskip(SKIP_4) | instid1(VALU_DEP_1)
	v_cmp_eq_u32_e32 vcc_lo, 0, v5
	s_or_b32 s1, vcc_lo, s1
	s_waitcnt lgkmcnt(0)
	global_store_b64 v[1:2], v[3:4], off
	v_add_co_u32 v1, s0, v1, s2
	v_add_co_ci_u32_e64 v2, s0, s3, v2, s0
	s_and_not1_b32 exec_lo, exec_lo, s1
	s_cbranch_execnz .LBB9_52
.LBB9_53:
	s_nop 0
	s_sendmsg sendmsg(MSG_DEALLOC_VGPRS)
	s_endpgm
	.section	.rodata,"a",@progbits
	.p2align	6, 0x0
	.amdhsa_kernel _ZL26rocblas_trtri_small_kernelILi16E19rocblas_complex_numIfEPKS1_PS1_Ev13rocblas_fill_17rocblas_diagonal_iT1_lillT2_lilli
		.amdhsa_group_segment_fixed_size 2048
		.amdhsa_private_segment_fixed_size 0
		.amdhsa_kernarg_size 100
		.amdhsa_user_sgpr_count 14
		.amdhsa_user_sgpr_dispatch_ptr 0
		.amdhsa_user_sgpr_queue_ptr 0
		.amdhsa_user_sgpr_kernarg_segment_ptr 1
		.amdhsa_user_sgpr_dispatch_id 0
		.amdhsa_user_sgpr_private_segment_size 0
		.amdhsa_wavefront_size32 1
		.amdhsa_uses_dynamic_stack 0
		.amdhsa_enable_private_segment 0
		.amdhsa_system_sgpr_workgroup_id_x 1
		.amdhsa_system_sgpr_workgroup_id_y 0
		.amdhsa_system_sgpr_workgroup_id_z 1
		.amdhsa_system_sgpr_workgroup_info 0
		.amdhsa_system_vgpr_workitem_id 0
		.amdhsa_next_free_vgpr 21
		.amdhsa_next_free_sgpr 41
		.amdhsa_reserve_vcc 1
		.amdhsa_float_round_mode_32 0
		.amdhsa_float_round_mode_16_64 0
		.amdhsa_float_denorm_mode_32 3
		.amdhsa_float_denorm_mode_16_64 3
		.amdhsa_dx10_clamp 1
		.amdhsa_ieee_mode 1
		.amdhsa_fp16_overflow 0
		.amdhsa_workgroup_processor_mode 1
		.amdhsa_memory_ordered 1
		.amdhsa_forward_progress 0
		.amdhsa_shared_vgpr_count 0
		.amdhsa_exception_fp_ieee_invalid_op 0
		.amdhsa_exception_fp_denorm_src 0
		.amdhsa_exception_fp_ieee_div_zero 0
		.amdhsa_exception_fp_ieee_overflow 0
		.amdhsa_exception_fp_ieee_underflow 0
		.amdhsa_exception_fp_ieee_inexact 0
		.amdhsa_exception_int_div_zero 0
	.end_amdhsa_kernel
	.section	.text._ZL26rocblas_trtri_small_kernelILi16E19rocblas_complex_numIfEPKS1_PS1_Ev13rocblas_fill_17rocblas_diagonal_iT1_lillT2_lilli,"axG",@progbits,_ZL26rocblas_trtri_small_kernelILi16E19rocblas_complex_numIfEPKS1_PS1_Ev13rocblas_fill_17rocblas_diagonal_iT1_lillT2_lilli,comdat
.Lfunc_end9:
	.size	_ZL26rocblas_trtri_small_kernelILi16E19rocblas_complex_numIfEPKS1_PS1_Ev13rocblas_fill_17rocblas_diagonal_iT1_lillT2_lilli, .Lfunc_end9-_ZL26rocblas_trtri_small_kernelILi16E19rocblas_complex_numIfEPKS1_PS1_Ev13rocblas_fill_17rocblas_diagonal_iT1_lillT2_lilli
                                        ; -- End function
	.section	.AMDGPU.csdata,"",@progbits
; Kernel info:
; codeLenInByte = 2812
; NumSgprs: 43
; NumVgprs: 21
; ScratchSize: 0
; MemoryBound: 0
; FloatMode: 240
; IeeeMode: 1
; LDSByteSize: 2048 bytes/workgroup (compile time only)
; SGPRBlocks: 5
; VGPRBlocks: 2
; NumSGPRsForWavesPerEU: 43
; NumVGPRsForWavesPerEU: 21
; Occupancy: 16
; WaveLimiterHint : 0
; COMPUTE_PGM_RSRC2:SCRATCH_EN: 0
; COMPUTE_PGM_RSRC2:USER_SGPR: 14
; COMPUTE_PGM_RSRC2:TRAP_HANDLER: 0
; COMPUTE_PGM_RSRC2:TGID_X_EN: 1
; COMPUTE_PGM_RSRC2:TGID_Y_EN: 0
; COMPUTE_PGM_RSRC2:TGID_Z_EN: 1
; COMPUTE_PGM_RSRC2:TIDIG_COMP_CNT: 0
	.section	.text._ZL29rocblas_trtri_diagonal_kernelILi16E19rocblas_complex_numIfEPKS1_PS1_Ev13rocblas_fill_17rocblas_diagonal_iT1_lillT2_lilli,"axG",@progbits,_ZL29rocblas_trtri_diagonal_kernelILi16E19rocblas_complex_numIfEPKS1_PS1_Ev13rocblas_fill_17rocblas_diagonal_iT1_lillT2_lilli,comdat
	.globl	_ZL29rocblas_trtri_diagonal_kernelILi16E19rocblas_complex_numIfEPKS1_PS1_Ev13rocblas_fill_17rocblas_diagonal_iT1_lillT2_lilli ; -- Begin function _ZL29rocblas_trtri_diagonal_kernelILi16E19rocblas_complex_numIfEPKS1_PS1_Ev13rocblas_fill_17rocblas_diagonal_iT1_lillT2_lilli
	.p2align	8
	.type	_ZL29rocblas_trtri_diagonal_kernelILi16E19rocblas_complex_numIfEPKS1_PS1_Ev13rocblas_fill_17rocblas_diagonal_iT1_lillT2_lilli,@function
_ZL29rocblas_trtri_diagonal_kernelILi16E19rocblas_complex_numIfEPKS1_PS1_Ev13rocblas_fill_17rocblas_diagonal_iT1_lillT2_lilli: ; @_ZL29rocblas_trtri_diagonal_kernelILi16E19rocblas_complex_numIfEPKS1_PS1_Ev13rocblas_fill_17rocblas_diagonal_iT1_lillT2_lilli
; %bb.0:
	s_load_b128 s[8:11], s[0:1], 0x0
	s_waitcnt lgkmcnt(0)
	s_ashr_i32 s2, s10, 31
	s_delay_alu instid0(SALU_CYCLE_1) | instskip(NEXT) | instid1(SALU_CYCLE_1)
	s_lshr_b32 s2, s2, 27
	s_add_i32 s2, s10, s2
	s_delay_alu instid0(SALU_CYCLE_1) | instskip(NEXT) | instid1(SALU_CYCLE_1)
	s_ashr_i32 s2, s2, 5
	v_cvt_f32_u32_e32 v1, s2
	s_sub_i32 s4, 0, s2
	s_delay_alu instid0(VALU_DEP_1) | instskip(SKIP_2) | instid1(VALU_DEP_1)
	v_rcp_iflag_f32_e32 v1, v1
	s_waitcnt_depctr 0xfff
	v_mul_f32_e32 v1, 0x4f7ffffe, v1
	v_cvt_u32_f32_e32 v1, v1
	s_delay_alu instid0(VALU_DEP_1) | instskip(NEXT) | instid1(VALU_DEP_1)
	v_readfirstlane_b32 s3, v1
	s_mul_i32 s4, s4, s3
	s_delay_alu instid0(SALU_CYCLE_1) | instskip(NEXT) | instid1(SALU_CYCLE_1)
	s_mul_hi_u32 s4, s3, s4
	s_add_i32 s3, s3, s4
	s_delay_alu instid0(SALU_CYCLE_1) | instskip(NEXT) | instid1(SALU_CYCLE_1)
	s_mul_hi_u32 s3, s14, s3
	s_mul_i32 s4, s3, s2
	s_add_i32 s5, s3, 1
	s_sub_i32 s4, s14, s4
	s_delay_alu instid0(SALU_CYCLE_1)
	s_sub_i32 s6, s4, s2
	s_cmp_ge_u32 s4, s2
	s_cselect_b32 s3, s5, s3
	s_cselect_b32 s4, s6, s4
	s_add_i32 s5, s3, 1
	s_cmp_ge_u32 s4, s2
	s_cselect_b32 s29, s5, s3
	s_delay_alu instid0(SALU_CYCLE_1) | instskip(NEXT) | instid1(SALU_CYCLE_1)
	s_mul_i32 s2, s29, s2
	s_sub_i32 s30, s14, s2
	s_delay_alu instid0(SALU_CYCLE_1) | instskip(NEXT) | instid1(SALU_CYCLE_1)
	s_lshl_b32 s2, s30, 4
	s_cmp_eq_u32 s10, s2
	s_cbranch_scc1 .LBB10_110
; %bb.1:
	s_sub_i32 s28, s10, s2
	v_mov_b32_e32 v1, v0
	s_min_u32 s14, s28, 16
	s_delay_alu instid0(SALU_CYCLE_1) | instskip(SKIP_4) | instid1(VALU_DEP_3)
	s_lshl_b32 s6, s14, 1
	v_cmp_gt_u32_e64 s4, s14, v0
	v_cmp_le_u32_e64 s2, s14, v0
	v_cmp_gt_u32_e64 s3, s6, v0
	v_cmp_le_u32_e32 vcc_lo, s6, v0
	s_and_saveexec_b32 s5, s2
	s_cbranch_execz .LBB10_7
; %bb.2:
                                        ; implicit-def: $vgpr1
	s_and_saveexec_b32 s7, vcc_lo
	s_delay_alu instid0(SALU_CYCLE_1)
	s_xor_b32 s7, exec_lo, s7
; %bb.3:
	v_subrev_nc_u32_e32 v1, s6, v0
; %bb.4:
	s_and_not1_saveexec_b32 s6, s7
; %bb.5:
	v_subrev_nc_u32_e32 v1, s14, v0
; %bb.6:
	s_or_b32 exec_lo, exec_lo, s6
.LBB10_7:
	s_delay_alu instid0(SALU_CYCLE_1)
	s_or_b32 exec_lo, exec_lo, s5
	s_clause 0x2
	s_load_b32 s6, s[0:1], 0x20
	s_load_b256 s[16:23], s[0:1], 0x28
	s_load_b128 s[24:27], s[0:1], 0x10
	v_cndmask_b32_e64 v2, 0, 0x1800, s3
	s_delay_alu instid0(VALU_DEP_1)
	v_cndmask_b32_e64 v9, v2, 0x1000, s4
	s_waitcnt lgkmcnt(0)
	s_ashr_i32 s7, s6, 31
	s_mul_i32 s5, s15, s17
	s_mul_hi_u32 s12, s15, s16
	s_lshl_b64 s[10:11], s[6:7], 5
	s_add_i32 s5, s12, s5
	s_add_u32 s10, s10, 32
	s_addc_u32 s11, s11, 0
	s_mul_i32 s4, s15, s16
	s_mul_i32 s13, s29, s19
	s_mul_hi_u32 s16, s29, s18
	s_mul_hi_u32 s12, s10, s30
	s_mul_i32 s11, s11, s30
	s_add_i32 s13, s16, s13
	s_mul_i32 s10, s10, s30
	s_add_i32 s11, s12, s11
	s_mul_i32 s12, s29, s18
	s_and_saveexec_b32 s16, vcc_lo
	s_delay_alu instid0(SALU_CYCLE_1)
	s_xor_b32 s18, exec_lo, s16
	s_cbranch_execz .LBB10_17
; %bb.8:
	s_mul_i32 s16, s14, 3
	s_mov_b32 s19, exec_lo
	v_cmpx_gt_u32_e64 s16, v0
	s_cbranch_execz .LBB10_16
; %bb.9:
	s_cmpk_eq_i32 s8, 0x7a
	s_mov_b32 s16, -1
	s_cbranch_scc1 .LBB10_13
; %bb.10:
	s_add_i32 s34, s14, -1
	s_lshl_b32 s33, s14, 3
	s_mul_i32 s17, s14, s34
	s_lshl_b64 s[36:37], s[12:13], 3
	s_lshl_b64 s[38:39], s[4:5], 3
	s_add_i32 s16, s14, 1
	s_lshl_b32 s31, s17, 3
	s_sub_i32 s17, 0, s33
	s_add_u32 s38, s36, s38
	s_addc_u32 s39, s37, s39
	s_lshl_b64 s[36:37], s[10:11], 3
	s_mov_b32 s35, 0
	v_lshlrev_b32_e32 v3, 3, v1
	s_add_u32 s36, s38, s36
	s_addc_u32 s37, s39, s37
	s_lshl_b64 s[34:35], s[34:35], 3
	v_ashrrev_i32_e32 v2, 31, v1
	s_add_u32 s33, s33, s34
	v_add3_u32 v4, s31, v3, v9
	s_mul_i32 s31, s33, s7
	s_mul_hi_u32 s34, s33, s6
	s_addc_u32 s35, 0, s35
	s_add_i32 s31, s34, s31
	s_mul_i32 s35, s35, s6
	s_mul_i32 s33, s33, s6
	s_add_i32 s31, s31, s35
	s_add_u32 s33, s36, s33
	s_addc_u32 s31, s37, s31
	s_lshl_b64 s[34:35], s[26:27], 3
	v_lshlrev_b64 v[2:3], 3, v[1:2]
	s_add_u32 s33, s33, s34
	s_addc_u32 s31, s31, s35
	s_add_u32 s33, s24, s33
	s_addc_u32 s31, s25, s31
	s_lshl_b64 s[34:35], s[6:7], 3
	v_add_co_u32 v2, vcc_lo, s33, v2
	v_add_co_ci_u32_e32 v3, vcc_lo, s31, v3, vcc_lo
	s_sub_u32 s31, 0, s34
	s_subb_u32 s33, 0, s35
.LBB10_11:                              ; =>This Inner Loop Header: Depth=1
	global_load_b64 v[5:6], v[2:3], off
	v_add_co_u32 v2, vcc_lo, v2, s31
	v_add_co_ci_u32_e32 v3, vcc_lo, s33, v3, vcc_lo
	s_add_i32 s16, s16, -1
	s_delay_alu instid0(SALU_CYCLE_1)
	s_cmp_gt_u32 s16, 1
	s_waitcnt vmcnt(0)
	ds_store_b64 v4, v[5:6]
	v_add_nc_u32_e32 v4, s17, v4
	s_cbranch_scc1 .LBB10_11
; %bb.12:
	s_mov_b32 s16, 0
.LBB10_13:
	s_delay_alu instid0(SALU_CYCLE_1)
	s_and_b32 vcc_lo, exec_lo, s16
	s_cbranch_vccz .LBB10_16
; %bb.14:
	v_add_nc_u32_e32 v2, s14, v1
	s_lshl_b64 s[16:17], s[4:5], 3
	v_lshl_add_u32 v4, v1, 3, v9
	s_add_u32 s31, s24, s16
	s_addc_u32 s33, s25, s17
	v_ashrrev_i32_e32 v3, 31, v2
	s_lshl_b64 s[16:17], s[26:27], 3
	s_delay_alu instid0(SALU_CYCLE_1)
	s_add_u32 s31, s31, s16
	s_addc_u32 s33, s33, s17
	s_lshl_b64 s[16:17], s[10:11], 3
	v_lshlrev_b64 v[2:3], 3, v[2:3]
	s_add_u32 s31, s31, s16
	s_addc_u32 s33, s33, s17
	s_lshl_b64 s[16:17], s[12:13], 3
	s_delay_alu instid0(SALU_CYCLE_1)
	s_add_u32 s16, s31, s16
	s_addc_u32 s17, s33, s17
	v_add_co_u32 v2, vcc_lo, s16, v2
	v_add_co_ci_u32_e32 v3, vcc_lo, s17, v3, vcc_lo
	s_lshl_b32 s31, s14, 3
	s_lshl_b64 s[16:17], s[6:7], 3
	s_mov_b32 s33, s14
.LBB10_15:                              ; =>This Inner Loop Header: Depth=1
	global_load_b64 v[5:6], v[2:3], off
	v_add_co_u32 v2, vcc_lo, v2, s16
	v_add_co_ci_u32_e32 v3, vcc_lo, s17, v3, vcc_lo
	s_add_i32 s33, s33, -1
	s_delay_alu instid0(SALU_CYCLE_1)
	s_cmp_eq_u32 s33, 0
	s_waitcnt vmcnt(0)
	ds_store_b64 v4, v[5:6]
	v_add_nc_u32_e32 v4, s31, v4
	s_cbranch_scc0 .LBB10_15
.LBB10_16:
	s_or_b32 exec_lo, exec_lo, s19
.LBB10_17:
	s_and_not1_saveexec_b32 s16, s18
	s_cbranch_execz .LBB10_31
; %bb.18:
	v_mov_b32_e32 v2, 0
	v_mov_b32_e32 v3, 0
	s_and_saveexec_b32 s17, s2
; %bb.19:
	s_add_u32 s18, s6, 1
	s_addc_u32 s19, s7, 0
	s_mul_hi_u32 s31, s18, s14
	s_mul_i32 s19, s19, s14
	s_mul_i32 s18, s18, s14
	s_add_i32 s19, s31, s19
	s_delay_alu instid0(SALU_CYCLE_1)
	v_dual_mov_b32 v2, s18 :: v_dual_mov_b32 v3, s19
; %bb.20:
	s_or_b32 exec_lo, exec_lo, s17
	s_delay_alu instid0(VALU_DEP_1)
	v_lshlrev_b64 v[3:4], 3, v[2:3]
	s_cmpk_lg_i32 s8, 0x7a
	s_mov_b32 s17, -1
	s_cbranch_scc0 .LBB10_26
; %bb.21:
	s_lshl_b64 s[34:35], s[12:13], 3
	s_lshl_b64 s[36:37], s[4:5], 3
	s_add_i32 s17, s14, -1
	s_lshl_b32 s18, s14, 3
	s_add_u32 s19, s34, s36
	s_addc_u32 s31, s35, s37
	s_lshl_b64 s[34:35], s[10:11], 3
	s_mul_i32 s33, s7, s17
	s_add_u32 s19, s19, s34
	s_mul_hi_u32 s34, s6, s17
	s_addc_u32 s31, s31, s35
	s_add_i32 s35, s34, s33
	s_mul_i32 s34, s6, s17
	v_ashrrev_i32_e32 v2, 31, v1
	s_lshl_b64 s[34:35], s[34:35], 3
	s_delay_alu instid0(SALU_CYCLE_1)
	s_add_u32 s19, s19, s34
	s_addc_u32 s31, s31, s35
	s_lshl_b64 s[34:35], s[26:27], 3
	v_lshlrev_b64 v[5:6], 3, v[1:2]
	s_add_u32 s19, s34, s19
	s_addc_u32 s31, s35, s31
	v_add_co_u32 v2, vcc_lo, s19, v3
	v_add_co_ci_u32_e32 v7, vcc_lo, s31, v4, vcc_lo
	s_lshl_b64 s[34:35], s[6:7], 3
	s_delay_alu instid0(VALU_DEP_2) | instskip(NEXT) | instid1(VALU_DEP_2)
	v_add_co_u32 v2, vcc_lo, v2, v5
	v_add_co_ci_u32_e32 v5, vcc_lo, v7, v6, vcc_lo
	v_sub_nc_u32_e32 v6, s17, v1
	s_delay_alu instid0(VALU_DEP_3) | instskip(NEXT) | instid1(VALU_DEP_3)
	v_add_co_u32 v7, vcc_lo, v2, s24
	v_add_co_ci_u32_e32 v8, vcc_lo, s25, v5, vcc_lo
	s_delay_alu instid0(VALU_DEP_3) | instskip(NEXT) | instid1(VALU_DEP_3)
	v_lshl_add_u32 v2, v6, 3, v9
	v_add_co_u32 v5, vcc_lo, v7, 4
	s_delay_alu instid0(VALU_DEP_3)
	v_add_co_ci_u32_e32 v6, vcc_lo, 0, v8, vcc_lo
	s_sub_u32 s19, 0, s34
	s_subb_u32 s31, 0, s35
	s_branch .LBB10_23
	.p2align	6
.LBB10_22:                              ;   in Loop: Header=BB10_23 Depth=1
	s_or_b32 exec_lo, exec_lo, s33
	v_add_co_u32 v5, vcc_lo, v5, s19
	s_waitcnt vmcnt(0)
	ds_store_b64 v2, v[7:8]
	v_add_nc_u32_e32 v2, s18, v2
	v_add_co_ci_u32_e32 v6, vcc_lo, s31, v6, vcc_lo
	s_add_i32 s17, s17, -1
	s_delay_alu instid0(SALU_CYCLE_1)
	s_cmp_eq_u32 s17, -1
	s_cbranch_scc1 .LBB10_25
.LBB10_23:                              ; =>This Inner Loop Header: Depth=1
	v_dual_mov_b32 v7, 0 :: v_dual_mov_b32 v8, 0
	s_mov_b32 s33, exec_lo
	v_cmpx_ge_i32_e64 s17, v1
	s_cbranch_execz .LBB10_22
; %bb.24:                               ;   in Loop: Header=BB10_23 Depth=1
	global_load_b64 v[7:8], v[5:6], off offset:-4
	s_branch .LBB10_22
.LBB10_25:
	s_mov_b32 s17, 0
.LBB10_26:
	s_delay_alu instid0(SALU_CYCLE_1)
	s_and_b32 vcc_lo, exec_lo, s17
	s_cbranch_vccz .LBB10_31
; %bb.27:
	s_lshl_b64 s[18:19], s[12:13], 3
	s_lshl_b64 s[4:5], s[4:5], 3
	s_lshl_b32 s12, s14, 3
	s_add_u32 s13, s18, s4
	s_addc_u32 s17, s19, s5
	s_lshl_b64 s[4:5], s[10:11], 3
	v_ashrrev_i32_e32 v2, 31, v1
	s_add_u32 s10, s13, s4
	s_addc_u32 s11, s17, s5
	s_lshl_b64 s[4:5], s[26:27], 3
	s_delay_alu instid0(SALU_CYCLE_1)
	s_add_u32 s4, s4, s10
	v_lshlrev_b64 v[5:6], 3, v[1:2]
	s_addc_u32 s5, s5, s11
	v_add_co_u32 v2, vcc_lo, s4, v3
	v_add_co_ci_u32_e32 v3, vcc_lo, s5, v4, vcc_lo
	s_lshl_b64 s[4:5], s[6:7], 3
	s_delay_alu instid0(VALU_DEP_2) | instskip(NEXT) | instid1(VALU_DEP_2)
	v_add_co_u32 v2, vcc_lo, v2, v5
	v_add_co_ci_u32_e32 v3, vcc_lo, v3, v6, vcc_lo
	v_lshl_add_u32 v6, v1, 3, v9
	s_delay_alu instid0(VALU_DEP_3) | instskip(NEXT) | instid1(VALU_DEP_3)
	v_add_co_u32 v2, vcc_lo, v2, s24
	v_add_co_ci_u32_e32 v3, vcc_lo, s25, v3, vcc_lo
	s_mov_b32 s6, 0
	s_delay_alu instid0(VALU_DEP_2) | instskip(NEXT) | instid1(VALU_DEP_2)
	v_add_co_u32 v2, vcc_lo, v2, 4
	v_add_co_ci_u32_e32 v3, vcc_lo, 0, v3, vcc_lo
	s_branch .LBB10_29
	.p2align	6
.LBB10_28:                              ;   in Loop: Header=BB10_29 Depth=1
	s_or_b32 exec_lo, exec_lo, s7
	v_add_co_u32 v2, vcc_lo, v2, s4
	s_waitcnt vmcnt(0)
	ds_store_b64 v6, v[4:5]
	v_add_nc_u32_e32 v6, s12, v6
	v_add_co_ci_u32_e32 v3, vcc_lo, s5, v3, vcc_lo
	s_add_i32 s6, s6, 1
	s_delay_alu instid0(SALU_CYCLE_1)
	s_cmp_eq_u32 s14, s6
	s_cbranch_scc1 .LBB10_31
.LBB10_29:                              ; =>This Inner Loop Header: Depth=1
	v_dual_mov_b32 v4, 0 :: v_dual_mov_b32 v5, 0
	s_mov_b32 s7, exec_lo
	v_cmpx_le_i32_e64 s6, v1
	s_cbranch_execz .LBB10_28
; %bb.30:                               ;   in Loop: Header=BB10_29 Depth=1
	global_load_b64 v[4:5], v[2:3], off offset:-4
	s_branch .LBB10_28
.LBB10_31:
	s_or_b32 exec_lo, exec_lo, s16
	s_waitcnt lgkmcnt(0)
	s_barrier
	buffer_gl0_inv
	s_and_saveexec_b32 s5, s3
	s_cbranch_execz .LBB10_44
; %bb.32:
	s_add_i32 s4, s14, 1
	s_cmpk_lg_i32 s9, 0x84
	v_mul_i32_i24_e32 v2, s4, v1
	s_mov_b32 s4, -1
	s_delay_alu instid0(VALU_DEP_1)
	v_lshl_add_u32 v6, v2, 3, v9
	s_cbranch_scc0 .LBB10_42
; %bb.33:
	ds_load_b64 v[2:3], v6
	s_waitcnt lgkmcnt(0)
	v_cmp_neq_f32_e32 vcc_lo, 0, v2
	v_cmp_neq_f32_e64 s4, 0, v3
	s_delay_alu instid0(VALU_DEP_1) | instskip(NEXT) | instid1(SALU_CYCLE_1)
	s_or_b32 s4, vcc_lo, s4
	s_and_saveexec_b32 s6, s4
	s_delay_alu instid0(SALU_CYCLE_1)
	s_xor_b32 s4, exec_lo, s6
	s_cbranch_execz .LBB10_39
; %bb.34:
	v_cmp_gt_f32_e32 vcc_lo, 0, v2
	v_cndmask_b32_e64 v4, v2, -v2, vcc_lo
	v_cmp_gt_f32_e32 vcc_lo, 0, v3
	v_cndmask_b32_e64 v5, v3, -v3, vcc_lo
	s_delay_alu instid0(VALU_DEP_1) | instskip(SKIP_1) | instid1(SALU_CYCLE_1)
	v_cmp_ngt_f32_e32 vcc_lo, v4, v5
                                        ; implicit-def: $vgpr4
	s_and_saveexec_b32 s6, vcc_lo
	s_xor_b32 s6, exec_lo, s6
	s_cbranch_execz .LBB10_36
; %bb.35:
	v_div_scale_f32 v4, null, v3, v3, v2
	v_div_scale_f32 v8, vcc_lo, v2, v3, v2
	s_delay_alu instid0(VALU_DEP_2) | instskip(SKIP_2) | instid1(VALU_DEP_1)
	v_rcp_f32_e32 v5, v4
	s_waitcnt_depctr 0xfff
	v_fma_f32 v7, -v4, v5, 1.0
	v_fmac_f32_e32 v5, v7, v5
	s_delay_alu instid0(VALU_DEP_1) | instskip(NEXT) | instid1(VALU_DEP_1)
	v_mul_f32_e32 v7, v8, v5
	v_fma_f32 v10, -v4, v7, v8
	s_delay_alu instid0(VALU_DEP_1) | instskip(NEXT) | instid1(VALU_DEP_1)
	v_fmac_f32_e32 v7, v10, v5
	v_fma_f32 v4, -v4, v7, v8
	s_delay_alu instid0(VALU_DEP_1) | instskip(NEXT) | instid1(VALU_DEP_1)
	v_div_fmas_f32 v4, v4, v5, v7
	v_div_fixup_f32 v4, v4, v3, v2
	s_delay_alu instid0(VALU_DEP_1) | instskip(NEXT) | instid1(VALU_DEP_1)
	v_fmac_f32_e32 v3, v2, v4
	v_div_scale_f32 v2, null, v3, v3, 1.0
	v_div_scale_f32 v8, vcc_lo, 1.0, v3, 1.0
	s_delay_alu instid0(VALU_DEP_2) | instskip(SKIP_2) | instid1(VALU_DEP_1)
	v_rcp_f32_e32 v5, v2
	s_waitcnt_depctr 0xfff
	v_fma_f32 v7, -v2, v5, 1.0
	v_fmac_f32_e32 v5, v7, v5
	s_delay_alu instid0(VALU_DEP_1) | instskip(NEXT) | instid1(VALU_DEP_1)
	v_mul_f32_e32 v7, v8, v5
	v_fma_f32 v10, -v2, v7, v8
	s_delay_alu instid0(VALU_DEP_1) | instskip(NEXT) | instid1(VALU_DEP_1)
	v_fmac_f32_e32 v7, v10, v5
	v_fma_f32 v2, -v2, v7, v8
	s_delay_alu instid0(VALU_DEP_1) | instskip(NEXT) | instid1(VALU_DEP_1)
	v_div_fmas_f32 v2, v2, v5, v7
	v_div_fixup_f32 v2, v2, v3, 1.0
	s_delay_alu instid0(VALU_DEP_1)
	v_mul_f32_e32 v4, v4, v2
	v_xor_b32_e32 v5, 0x80000000, v2
                                        ; implicit-def: $vgpr2_vgpr3
.LBB10_36:
	s_and_not1_saveexec_b32 s6, s6
	s_cbranch_execz .LBB10_38
; %bb.37:
	v_div_scale_f32 v4, null, v2, v2, v3
	v_div_scale_f32 v8, vcc_lo, v3, v2, v3
	s_delay_alu instid0(VALU_DEP_2) | instskip(SKIP_2) | instid1(VALU_DEP_1)
	v_rcp_f32_e32 v5, v4
	s_waitcnt_depctr 0xfff
	v_fma_f32 v7, -v4, v5, 1.0
	v_fmac_f32_e32 v5, v7, v5
	s_delay_alu instid0(VALU_DEP_1) | instskip(NEXT) | instid1(VALU_DEP_1)
	v_mul_f32_e32 v7, v8, v5
	v_fma_f32 v10, -v4, v7, v8
	s_delay_alu instid0(VALU_DEP_1) | instskip(NEXT) | instid1(VALU_DEP_1)
	v_fmac_f32_e32 v7, v10, v5
	v_fma_f32 v4, -v4, v7, v8
	s_delay_alu instid0(VALU_DEP_1) | instskip(NEXT) | instid1(VALU_DEP_1)
	v_div_fmas_f32 v4, v4, v5, v7
	v_div_fixup_f32 v5, v4, v2, v3
	s_delay_alu instid0(VALU_DEP_1) | instskip(NEXT) | instid1(VALU_DEP_1)
	v_fmac_f32_e32 v2, v3, v5
	v_div_scale_f32 v3, null, v2, v2, 1.0
	s_delay_alu instid0(VALU_DEP_1) | instskip(SKIP_2) | instid1(VALU_DEP_1)
	v_rcp_f32_e32 v4, v3
	s_waitcnt_depctr 0xfff
	v_fma_f32 v7, -v3, v4, 1.0
	v_fmac_f32_e32 v4, v7, v4
	v_div_scale_f32 v7, vcc_lo, 1.0, v2, 1.0
	s_delay_alu instid0(VALU_DEP_1) | instskip(NEXT) | instid1(VALU_DEP_1)
	v_mul_f32_e32 v8, v7, v4
	v_fma_f32 v10, -v3, v8, v7
	s_delay_alu instid0(VALU_DEP_1) | instskip(NEXT) | instid1(VALU_DEP_1)
	v_fmac_f32_e32 v8, v10, v4
	v_fma_f32 v3, -v3, v8, v7
	s_delay_alu instid0(VALU_DEP_1) | instskip(NEXT) | instid1(VALU_DEP_1)
	v_div_fmas_f32 v3, v3, v4, v8
	v_div_fixup_f32 v4, v3, v2, 1.0
	s_delay_alu instid0(VALU_DEP_1)
	v_mul_f32_e64 v5, v5, -v4
.LBB10_38:
	s_or_b32 exec_lo, exec_lo, s6
	ds_store_b64 v6, v[4:5]
.LBB10_39:
	s_and_not1_saveexec_b32 s4, s4
	s_cbranch_execz .LBB10_41
; %bb.40:
	v_dual_mov_b32 v2, 1.0 :: v_dual_mov_b32 v3, 0
	ds_store_b64 v6, v[2:3]
.LBB10_41:
	s_or_b32 exec_lo, exec_lo, s4
	s_mov_b32 s4, 0
.LBB10_42:
	s_delay_alu instid0(SALU_CYCLE_1)
	s_and_not1_b32 vcc_lo, exec_lo, s4
	s_cbranch_vccnz .LBB10_44
; %bb.43:
	v_dual_mov_b32 v2, 1.0 :: v_dual_mov_b32 v3, 0
	ds_store_b64 v6, v[2:3]
.LBB10_44:
	s_or_b32 exec_lo, exec_lo, s5
	s_waitcnt lgkmcnt(0)
	s_barrier
	buffer_gl0_inv
	s_and_saveexec_b32 s4, s3
	s_cbranch_execz .LBB10_56
; %bb.45:
	s_add_i32 s5, s14, 1
	v_lshlrev_b32_e32 v5, 3, v1
	v_mul_i32_i24_e32 v4, s5, v1
	s_lshl_b32 s5, s14, 3
	v_add_nc_u32_e32 v2, 8, v9
	s_add_i32 s6, s5, 8
	v_add_nc_u32_e32 v3, v9, v5
	v_lshl_add_u32 v4, v4, 3, v9
	v_add3_u32 v5, v5, s5, v9
	s_mov_b32 s7, 0
	s_branch .LBB10_47
.LBB10_46:                              ;   in Loop: Header=BB10_47 Depth=1
	s_set_inst_prefetch_distance 0x2
	v_add_nc_u32_e32 v2, s6, v2
	v_add_nc_u32_e32 v5, s5, v5
	s_cmp_eq_u32 s7, s14
	s_cbranch_scc1 .LBB10_56
.LBB10_47:                              ; =>This Loop Header: Depth=1
                                        ;     Child Loop BB10_52 Depth 2
	v_dual_mov_b32 v6, 0 :: v_dual_mov_b32 v7, 0
	s_mul_i32 s9, s7, s14
	s_mov_b32 s10, exec_lo
	v_cmpx_lt_i32_e64 s7, v1
	s_cbranch_execz .LBB10_49
; %bb.48:                               ;   in Loop: Header=BB10_47 Depth=1
	s_lshl_b32 s11, s9, 3
	s_lshl_b32 s12, s7, 3
	v_add_nc_u32_e32 v6, s11, v3
	v_add3_u32 v8, s11, s12, v9
	ds_load_b64 v[6:7], v6
	ds_load_b64 v[10:11], v8
	s_waitcnt lgkmcnt(0)
	v_mul_f32_e32 v8, v11, v7
	s_delay_alu instid0(VALU_DEP_1) | instskip(SKIP_1) | instid1(VALU_DEP_1)
	v_fma_f32 v8, v10, v6, -v8
	v_mul_f32_e32 v7, v10, v7
	v_dual_fmac_f32 v7, v11, v6 :: v_dual_add_f32 v6, 0, v8
	s_delay_alu instid0(VALU_DEP_1)
	v_add_f32_e32 v7, 0, v7
.LBB10_49:                              ;   in Loop: Header=BB10_47 Depth=1
	s_or_b32 exec_lo, exec_lo, s10
	s_add_i32 s7, s7, 1
	s_delay_alu instid0(SALU_CYCLE_1)
	s_cmp_ge_u32 s7, s14
	s_cbranch_scc1 .LBB10_46
; %bb.50:                               ;   in Loop: Header=BB10_47 Depth=1
	v_lshl_add_u32 v8, s9, 3, v3
	v_dual_mov_b32 v10, v5 :: v_dual_mov_b32 v11, v2
	s_mov_b32 s9, s7
	s_set_inst_prefetch_distance 0x1
	s_branch .LBB10_52
	.p2align	6
.LBB10_51:                              ;   in Loop: Header=BB10_52 Depth=2
	s_or_b32 exec_lo, exec_lo, s10
	v_add_nc_u32_e32 v11, 8, v11
	v_add_nc_u32_e32 v10, s5, v10
	s_add_i32 s9, s9, 1
	s_delay_alu instid0(SALU_CYCLE_1)
	s_cmp_ge_u32 s9, s14
	s_cbranch_scc1 .LBB10_46
.LBB10_52:                              ;   Parent Loop BB10_47 Depth=1
                                        ; =>  This Inner Loop Header: Depth=2
	s_mov_b32 s10, exec_lo
	v_cmpx_eq_u32_e64 s9, v1
	s_cbranch_execz .LBB10_54
; %bb.53:                               ;   in Loop: Header=BB10_52 Depth=2
	ds_load_b64 v[12:13], v4
	s_waitcnt lgkmcnt(0)
	v_dual_sub_f32 v15, 0, v6 :: v_dual_mul_f32 v14, v7, v13
	v_mul_f32_e32 v16, v7, v12
	s_delay_alu instid0(VALU_DEP_2) | instskip(NEXT) | instid1(VALU_DEP_2)
	v_fmac_f32_e32 v14, v15, v12
	v_fma_f32 v15, -v6, v13, -v16
	ds_store_b64 v8, v[14:15]
.LBB10_54:                              ;   in Loop: Header=BB10_52 Depth=2
	s_or_b32 exec_lo, exec_lo, s10
	s_delay_alu instid0(SALU_CYCLE_1)
	s_mov_b32 s10, exec_lo
	v_cmpx_lt_i32_e64 s9, v1
	s_cbranch_execz .LBB10_51
; %bb.55:                               ;   in Loop: Header=BB10_52 Depth=2
	ds_load_b64 v[12:13], v10
	ds_load_b64 v[14:15], v11
	s_waitcnt lgkmcnt(0)
	v_mul_f32_e32 v16, v15, v13
	v_mul_f32_e32 v13, v14, v13
	s_delay_alu instid0(VALU_DEP_2) | instskip(NEXT) | instid1(VALU_DEP_1)
	v_fma_f32 v14, v14, v12, -v16
	v_dual_fmac_f32 v13, v15, v12 :: v_dual_add_f32 v6, v6, v14
	s_delay_alu instid0(VALU_DEP_1)
	v_add_f32_e32 v7, v7, v13
	s_branch .LBB10_51
.LBB10_56:
	s_or_b32 exec_lo, exec_lo, s4
	s_and_b32 s4, s14, 0xffff
	v_cvt_f32_ubyte0_e32 v4, v0
	v_cvt_f32_u32_e32 v2, s4
	s_mul_i32 s4, s14, s14
	s_cmpk_lg_i32 s8, 0x7a
	v_cmp_gt_u32_e64 s4, s4, v0
	s_cselect_b32 s5, -1, 0
	v_rcp_iflag_f32_e32 v3, v2
	s_mov_b32 s9, 0
	s_waitcnt lgkmcnt(0)
	s_barrier
	buffer_gl0_inv
	v_mul_f32_e32 v3, v4, v3
	s_delay_alu instid0(VALU_DEP_1) | instskip(NEXT) | instid1(VALU_DEP_1)
	v_trunc_f32_e32 v3, v3
	v_fma_f32 v4, -v3, v2, v4
	v_cvt_u32_f32_e32 v3, v3
	s_delay_alu instid0(VALU_DEP_2) | instskip(NEXT) | instid1(VALU_DEP_2)
	v_cmp_ge_f32_e64 vcc_lo, |v4|, v2
	v_add_co_ci_u32_e32 v2, vcc_lo, 0, v3, vcc_lo
	s_and_b32 vcc_lo, exec_lo, s5
	s_delay_alu instid0(VALU_DEP_1) | instskip(SKIP_1) | instid1(VALU_DEP_1)
	v_and_b32_e32 v8, 0xffff, v2
	v_mul_lo_u16 v3, v2, s14
	v_sub_nc_u16 v3, v0, v3
	s_delay_alu instid0(VALU_DEP_1)
	v_and_b32_e32 v7, 0xffff, v3
	s_cbranch_vccz .LBB10_68
; %bb.57:
	s_mov_b32 s6, 0
                                        ; implicit-def: $vgpr3
                                        ; implicit-def: $vgpr0
	s_and_saveexec_b32 s7, s4
	s_cbranch_execz .LBB10_67
; %bb.58:
	v_dual_mov_b32 v2, 0 :: v_dual_add_nc_u32 v5, 1, v8
	v_dual_mov_b32 v0, 0 :: v_dual_mov_b32 v3, 0
	v_lshlrev_b32_e32 v4, 7, v8
	s_mov_b32 s8, exec_lo
	v_cmpx_lt_u16_e32 2, v8
	s_cbranch_execz .LBB10_62
; %bb.59:
	v_dual_mov_b32 v3, 0 :: v_dual_and_b32 v0, 0x7fc, v5
	v_lshlrev_b32_e32 v6, 3, v7
	v_sub_nc_u32_e32 v10, 0x1fe0, v4
	v_mov_b32_e32 v2, 0
	s_mov_b32 s10, 0
	s_set_inst_prefetch_distance 0x1
	.p2align	6
.LBB10_60:                              ; =>This Inner Loop Header: Depth=1
	ds_load_2addr_b64 v[11:14], v6 offset1:16
	ds_load_b128 v[15:18], v10 offset:16
	ds_load_b128 v[19:22], v10
	ds_load_2addr_b64 v[23:26], v6 offset0:32 offset1:48
	s_add_i32 s10, s10, 4
	v_add_nc_u32_e32 v6, 0x200, v6
	v_cmp_eq_u32_e32 vcc_lo, s10, v0
	v_subrev_nc_u32_e32 v10, 32, v10
	s_or_b32 s9, vcc_lo, s9
	s_waitcnt lgkmcnt(2)
	v_dual_mul_f32 v27, v18, v12 :: v_dual_mul_f32 v28, v16, v14
	v_mul_f32_e32 v12, v17, v12
	s_waitcnt lgkmcnt(0)
	v_dual_mul_f32 v14, v15, v14 :: v_dual_mul_f32 v29, v22, v24
	s_delay_alu instid0(VALU_DEP_3) | instskip(SKIP_2) | instid1(VALU_DEP_4)
	v_fma_f32 v17, v17, v11, -v27
	v_fma_f32 v15, v15, v13, -v28
	v_fmac_f32_e32 v12, v18, v11
	v_fmac_f32_e32 v14, v16, v13
	v_mul_f32_e32 v11, v20, v26
	v_fma_f32 v13, v21, v23, -v29
	s_delay_alu instid0(VALU_DEP_4) | instskip(SKIP_3) | instid1(VALU_DEP_3)
	v_add_f32_e32 v3, v3, v12
	v_mul_f32_e32 v24, v21, v24
	v_mul_f32_e32 v12, v19, v26
	v_fma_f32 v11, v19, v25, -v11
	v_dual_add_f32 v3, v3, v14 :: v_dual_fmac_f32 v24, v22, v23
	s_delay_alu instid0(VALU_DEP_1) | instskip(NEXT) | instid1(VALU_DEP_1)
	v_dual_fmac_f32 v12, v20, v25 :: v_dual_add_f32 v3, v3, v24
	v_dual_add_f32 v2, v2, v17 :: v_dual_add_f32 v3, v3, v12
	s_delay_alu instid0(VALU_DEP_1) | instskip(NEXT) | instid1(VALU_DEP_1)
	v_add_f32_e32 v2, v2, v15
	v_add_f32_e32 v2, v2, v13
	s_delay_alu instid0(VALU_DEP_1)
	v_add_f32_e32 v2, v2, v11
	s_and_not1_b32 exec_lo, exec_lo, s9
	s_cbranch_execnz .LBB10_60
; %bb.61:
	s_set_inst_prefetch_distance 0x2
	s_or_b32 exec_lo, exec_lo, s9
.LBB10_62:
	s_delay_alu instid0(SALU_CYCLE_1) | instskip(SKIP_3) | instid1(VALU_DEP_1)
	s_or_b32 exec_lo, exec_lo, s8
	v_and_b32_e32 v5, 3, v5
	s_mov_b32 s9, 0
	s_mov_b32 s8, exec_lo
	v_cmpx_ne_u32_e32 0, v5
	s_cbranch_execz .LBB10_66
; %bb.63:
	v_lshl_add_u32 v4, v0, 3, v4
	v_lshlrev_b32_e32 v6, 3, v7
	s_delay_alu instid0(VALU_DEP_2) | instskip(NEXT) | instid1(VALU_DEP_2)
	v_sub_nc_u32_e32 v4, 0x1ff8, v4
	v_lshl_add_u32 v0, v0, 7, v6
	.p2align	6
.LBB10_64:                              ; =>This Inner Loop Header: Depth=1
	ds_load_b64 v[10:11], v0
	ds_load_b64 v[12:13], v4
	v_add_nc_u32_e32 v5, -1, v5
	v_add_nc_u32_e32 v4, -8, v4
	v_add_nc_u32_e32 v0, 0x80, v0
	s_delay_alu instid0(VALU_DEP_3) | instskip(SKIP_4) | instid1(VALU_DEP_2)
	v_cmp_eq_u32_e32 vcc_lo, 0, v5
	s_or_b32 s9, vcc_lo, s9
	s_waitcnt lgkmcnt(0)
	v_mul_f32_e32 v6, v13, v11
	v_mul_f32_e32 v11, v12, v11
	v_fma_f32 v6, v12, v10, -v6
	s_delay_alu instid0(VALU_DEP_2) | instskip(NEXT) | instid1(VALU_DEP_1)
	v_fmac_f32_e32 v11, v13, v10
	v_dual_add_f32 v2, v2, v6 :: v_dual_add_f32 v3, v3, v11
	s_and_not1_b32 exec_lo, exec_lo, s9
	s_cbranch_execnz .LBB10_64
; %bb.65:
	s_or_b32 exec_lo, exec_lo, s9
.LBB10_66:
	s_delay_alu instid0(SALU_CYCLE_1) | instskip(NEXT) | instid1(SALU_CYCLE_1)
	s_or_b32 exec_lo, exec_lo, s8
	s_mov_b32 s9, exec_lo
	v_lshlrev_b32_e32 v0, 4, v8
.LBB10_67:
	s_or_b32 exec_lo, exec_lo, s7
	s_delay_alu instid0(SALU_CYCLE_1)
	s_and_b32 vcc_lo, exec_lo, s6
	s_cbranch_vccnz .LBB10_69
	s_branch .LBB10_76
.LBB10_68:
                                        ; implicit-def: $vgpr3
                                        ; implicit-def: $vgpr0
	s_cbranch_execz .LBB10_76
.LBB10_69:
                                        ; implicit-def: $vgpr3
                                        ; implicit-def: $vgpr0
	s_and_saveexec_b32 s6, s4
	s_cbranch_execz .LBB10_75
; %bb.70:
	v_dual_mov_b32 v3, 0 :: v_dual_mov_b32 v2, 0
	s_mov_b32 s7, exec_lo
	v_cmpx_gt_u16_e32 16, v8
	s_cbranch_execz .LBB10_74
; %bb.71:
	v_dual_mov_b32 v3, 0 :: v_dual_lshlrev_b32 v2, 3, v7
	s_movk_i32 s8, 0x88
	v_add_nc_u32_e32 v0, -1, v8
	v_mad_u32_u24 v4, v8, s8, 0x1000
	s_delay_alu instid0(VALU_DEP_3)
	v_lshl_add_u32 v5, v8, 7, v2
	v_mov_b32_e32 v2, 0
	s_mov_b32 s8, 0
	.p2align	6
.LBB10_72:                              ; =>This Inner Loop Header: Depth=1
	ds_load_b64 v[10:11], v5
	ds_load_b64 v[12:13], v4
	v_add_nc_u32_e32 v0, 1, v0
	v_add_nc_u32_e32 v5, 0x80, v5
	;; [unrolled: 1-line block ×3, first 2 shown]
	s_delay_alu instid0(VALU_DEP_3) | instskip(SKIP_4) | instid1(VALU_DEP_2)
	v_cmp_lt_u32_e32 vcc_lo, 14, v0
	s_or_b32 s8, vcc_lo, s8
	s_waitcnt lgkmcnt(0)
	v_mul_f32_e32 v6, v13, v11
	v_mul_f32_e32 v11, v12, v11
	v_fma_f32 v6, v12, v10, -v6
	s_delay_alu instid0(VALU_DEP_2) | instskip(NEXT) | instid1(VALU_DEP_1)
	v_fmac_f32_e32 v11, v13, v10
	v_dual_add_f32 v2, v2, v6 :: v_dual_add_f32 v3, v3, v11
	s_and_not1_b32 exec_lo, exec_lo, s8
	s_cbranch_execnz .LBB10_72
; %bb.73:
	s_or_b32 exec_lo, exec_lo, s8
.LBB10_74:
	s_delay_alu instid0(SALU_CYCLE_1)
	s_or_b32 exec_lo, exec_lo, s7
	v_lshlrev_b32_e32 v0, 4, v8
	s_or_b32 s9, s9, exec_lo
.LBB10_75:
	s_or_b32 exec_lo, exec_lo, s6
.LBB10_76:
	s_and_saveexec_b32 s6, s9
	s_cbranch_execz .LBB10_78
; %bb.77:
	v_add_lshl_u32 v0, v0, v7, 3
	ds_store_b64 v0, v[2:3] offset:2048
.LBB10_78:
	s_or_b32 exec_lo, exec_lo, s6
	s_clause 0x1
	s_load_b128 s[16:19], s[0:1], 0x50
	s_load_b32 s6, s[0:1], 0x48
	s_waitcnt lgkmcnt(0)
	s_barrier
	buffer_gl0_inv
	s_mul_i32 s1, s15, s17
	s_mul_hi_u32 s7, s15, s16
	s_mul_i32 s0, s15, s16
	s_add_i32 s1, s7, s1
	s_ashr_i32 s7, s6, 31
	s_lshl_b64 s[8:9], s[0:1], 3
	s_mul_i32 s16, s29, s19
	s_add_u32 s10, s20, s8
	s_addc_u32 s11, s21, s9
	s_lshl_b64 s[0:1], s[22:23], 3
	s_mul_hi_u32 s17, s29, s18
	s_add_u32 s13, s10, s0
	s_addc_u32 s15, s11, s1
	s_lshl_b64 s[10:11], s[6:7], 5
	s_delay_alu instid0(SALU_CYCLE_1)
	s_add_u32 s10, s10, 32
	s_addc_u32 s11, s11, 0
	s_mul_hi_u32 s12, s10, s30
	s_mul_i32 s11, s11, s30
	s_mul_i32 s10, s10, s30
	s_add_i32 s11, s12, s11
	s_mul_i32 s12, s29, s18
	s_lshl_b64 s[10:11], s[10:11], 3
	s_delay_alu instid0(SALU_CYCLE_1) | instskip(SKIP_2) | instid1(SALU_CYCLE_1)
	s_add_u32 s18, s13, s10
	s_addc_u32 s19, s15, s11
	s_add_i32 s13, s17, s16
	s_lshl_b64 s[12:13], s[12:13], 3
	s_delay_alu instid0(SALU_CYCLE_1)
	s_add_u32 s15, s18, s12
	s_addc_u32 s16, s19, s13
	s_and_b32 vcc_lo, exec_lo, s5
	s_cbranch_vccz .LBB10_84
; %bb.79:
	s_mov_b32 s18, 0
	s_mov_b32 s17, 0
                                        ; implicit-def: $vgpr6
                                        ; implicit-def: $vgpr2_vgpr3
	s_and_saveexec_b32 s19, s4
	s_cbranch_execz .LBB10_83
; %bb.80:
	v_sub_nc_u32_e32 v0, s14, v7
	v_mad_u32_u24 v3, s14, v8, v7
	v_mov_b32_e32 v6, 0
	s_lshl_b32 s22, s14, 3
	s_delay_alu instid0(SALU_CYCLE_1) | instskip(SKIP_3) | instid1(VALU_DEP_3)
	s_sub_i32 s22, 0, s22
	v_mul_i32_i24_e32 v2, s14, v0
	v_lshlrev_b32_e32 v0, 3, v7
	v_lshl_add_u32 v3, v3, 3, 0x800
	v_lshlrev_b32_e32 v2, 3, v2
	s_delay_alu instid0(VALU_DEP_1) | instskip(SKIP_1) | instid1(VALU_DEP_2)
	v_sub_nc_u32_e32 v5, v2, v0
	v_add_nc_u32_e32 v2, -1, v7
	v_dual_mov_b32 v4, 0 :: v_dual_add_nc_u32 v5, 0xff8, v5
	.p2align	6
.LBB10_81:                              ; =>This Inner Loop Header: Depth=1
	ds_load_b64 v[10:11], v5
	ds_load_b64 v[12:13], v3
	v_add_nc_u32_e32 v2, 1, v2
	v_add_nc_u32_e32 v3, 8, v3
	s_delay_alu instid0(VALU_DEP_2) | instskip(SKIP_4) | instid1(VALU_DEP_2)
	v_cmp_lt_u32_e32 vcc_lo, 14, v2
	s_or_b32 s17, vcc_lo, s17
	s_waitcnt lgkmcnt(0)
	v_mul_f32_e32 v14, v10, v12
	v_mul_f32_e32 v10, v10, v13
	v_fma_f32 v13, v11, v13, -v14
	s_delay_alu instid0(VALU_DEP_2) | instskip(SKIP_1) | instid1(VALU_DEP_3)
	v_fma_f32 v10, v12, -v11, -v10
	v_add_nc_u32_e32 v5, s22, v5
	v_add_f32_e32 v4, v4, v13
	s_delay_alu instid0(VALU_DEP_3)
	v_add_f32_e32 v6, v6, v10
	s_and_not1_b32 exec_lo, exec_lo, s17
	s_cbranch_execnz .LBB10_81
; %bb.82:
	s_or_b32 exec_lo, exec_lo, s17
	v_mad_i64_i32 v[2:3], null, v8, s6, 0
	s_mul_hi_i32 s23, s14, s6
	s_mul_i32 s22, s14, s6
	s_mov_b32 s17, exec_lo
	s_lshl_b64 s[22:23], s[22:23], 3
	s_delay_alu instid0(SALU_CYCLE_1) | instskip(NEXT) | instid1(VALU_DEP_1)
	s_add_u32 s22, s15, s22
	v_lshlrev_b64 v[2:3], 3, v[2:3]
	s_addc_u32 s23, s16, s23
	v_add_co_u32 v0, s22, s22, v0
	s_delay_alu instid0(VALU_DEP_1) | instskip(NEXT) | instid1(VALU_DEP_2)
	v_add_co_ci_u32_e64 v5, null, s23, 0, s22
	v_add_co_u32 v2, vcc_lo, v0, v2
	s_delay_alu instid0(VALU_DEP_2)
	v_add_co_ci_u32_e32 v3, vcc_lo, v5, v3, vcc_lo
	global_store_b32 v[2:3], v4, off
.LBB10_83:
	s_or_b32 exec_lo, exec_lo, s19
	s_delay_alu instid0(SALU_CYCLE_1)
	s_and_b32 vcc_lo, exec_lo, s18
	s_cbranch_vccnz .LBB10_85
	s_branch .LBB10_96
.LBB10_84:
	s_mov_b32 s17, 0
                                        ; implicit-def: $vgpr6
                                        ; implicit-def: $vgpr2_vgpr3
	s_cbranch_execz .LBB10_96
.LBB10_85:
                                        ; implicit-def: $vgpr6
                                        ; implicit-def: $vgpr2_vgpr3
	s_and_saveexec_b32 s18, s4
	s_cbranch_execz .LBB10_95
; %bb.86:
	v_mul_u32_u24_e32 v11, s14, v8
	v_dual_mov_b32 v6, 0 :: v_dual_add_nc_u32 v13, 1, v7
	v_mov_b32_e32 v12, 0
	v_mov_b32_e32 v10, 0
	s_mov_b32 s4, exec_lo
	v_cmpx_lt_u16_e32 6, v7
	s_cbranch_execz .LBB10_90
; %bb.87:
	v_lshl_add_u32 v0, v7, 3, 0x1800
	v_and_b32_e32 v12, 56, v13
	v_lshl_add_u32 v14, v11, 3, 0x800
	v_mov_b32_e32 v10, 0
	s_lshl_b32 s22, s14, 6
	v_mad_u64_u32 v[2:3], null, s14, 24, v[0:1]
	v_mad_u64_u32 v[3:4], null, s14, 40, v[0:1]
	;; [unrolled: 1-line block ×4, first 2 shown]
	v_lshl_add_u32 v15, s14, 3, v0
	v_lshl_add_u32 v16, s14, 4, v0
	;; [unrolled: 1-line block ×3, first 2 shown]
	v_mov_b32_e32 v6, 0
	s_mov_b32 s19, 0
	s_mov_b32 s23, 0
.LBB10_88:                              ; =>This Inner Loop Header: Depth=1
	ds_load_b64 v[34:35], v0
	ds_load_2addr_b64 v[18:21], v14 offset1:1
	ds_load_b64 v[36:37], v15
	ds_load_2addr_b64 v[22:25], v14 offset0:2 offset1:3
	ds_load_b64 v[38:39], v16
	ds_load_b64 v[40:41], v2
	;; [unrolled: 1-line block ×3, first 2 shown]
	ds_load_2addr_b64 v[26:29], v14 offset0:4 offset1:5
	ds_load_2addr_b64 v[30:33], v14 offset0:6 offset1:7
	ds_load_b64 v[44:45], v3
	ds_load_b64 v[46:47], v4
	;; [unrolled: 1-line block ×3, first 2 shown]
	v_add_nc_u32_e32 v15, s22, v15
	v_add_nc_u32_e32 v17, s22, v17
	;; [unrolled: 1-line block ×6, first 2 shown]
	s_add_i32 s23, s23, 8
	v_add_nc_u32_e32 v4, s22, v4
	v_cmp_eq_u32_e32 vcc_lo, s23, v12
	s_waitcnt lgkmcnt(10)
	v_mul_f32_e32 v50, v34, v18
	s_waitcnt lgkmcnt(9)
	v_dual_mul_f32 v34, v34, v19 :: v_dual_mul_f32 v51, v36, v20
	v_mul_f32_e32 v36, v36, v21
	s_waitcnt lgkmcnt(7)
	v_mul_f32_e32 v52, v38, v22
	v_fma_f32 v19, v35, v19, -v50
	v_fma_f32 v18, v18, -v35, -v34
	v_dual_mul_f32 v38, v38, v23 :: v_dual_add_nc_u32 v5, s22, v5
	v_fma_f32 v21, v37, v21, -v51
	v_fma_f32 v20, v20, -v37, -v36
	v_add_f32_e32 v10, v10, v19
	s_waitcnt lgkmcnt(6)
	v_dual_add_f32 v6, v6, v18 :: v_dual_mul_f32 v53, v40, v24
	v_mul_f32_e32 v40, v40, v25
	v_fma_f32 v19, v39, v23, -v52
	v_fma_f32 v22, v22, -v39, -v38
	v_add_f32_e32 v10, v10, v21
	v_add_f32_e32 v6, v6, v20
	s_waitcnt lgkmcnt(4)
	v_mul_f32_e32 v54, v42, v26
	v_mul_f32_e32 v42, v42, v27
	v_fma_f32 v21, v41, v25, -v53
	v_fma_f32 v23, v24, -v41, -v40
	v_add_f32_e32 v10, v10, v19
	v_add_f32_e32 v6, v6, v22
	s_waitcnt lgkmcnt(2)
	v_mul_f32_e32 v34, v44, v28
	v_mul_f32_e32 v18, v44, v29
	v_fma_f32 v22, v43, v27, -v54
	v_fma_f32 v24, v26, -v43, -v42
	v_add_f32_e32 v10, v10, v21
	v_add_f32_e32 v6, v6, v23
	s_waitcnt lgkmcnt(1)
	v_mul_f32_e32 v20, v46, v30
	v_mul_f32_e32 v19, v46, v31
	v_fma_f32 v23, v45, v29, -v34
	v_fma_f32 v18, v28, -v45, -v18
	v_add_f32_e32 v10, v10, v22
	v_add_f32_e32 v6, v6, v24
	s_waitcnt lgkmcnt(0)
	v_mul_f32_e32 v21, v48, v32
	v_mul_f32_e32 v22, v48, v33
	v_fma_f32 v20, v47, v31, -v20
	v_fma_f32 v19, v30, -v47, -v19
	v_add_f32_e32 v10, v10, v23
	v_add_f32_e32 v6, v6, v18
	v_fma_f32 v18, v49, v33, -v21
	v_fma_f32 v21, v32, -v49, -v22
	v_add_nc_u32_e32 v0, s22, v0
	v_add_f32_e32 v10, v10, v20
	v_add_f32_e32 v6, v6, v19
	s_or_b32 s19, vcc_lo, s19
	s_delay_alu instid0(VALU_DEP_2) | instskip(NEXT) | instid1(VALU_DEP_2)
	v_add_f32_e32 v10, v10, v18
	v_add_f32_e32 v6, v6, v21
	s_and_not1_b32 exec_lo, exec_lo, s19
	s_cbranch_execnz .LBB10_88
; %bb.89:
	s_or_b32 exec_lo, exec_lo, s19
.LBB10_90:
	s_delay_alu instid0(SALU_CYCLE_1) | instskip(SKIP_3) | instid1(VALU_DEP_1)
	s_or_b32 exec_lo, exec_lo, s4
	v_and_b32_e32 v0, 7, v13
	s_mov_b32 s19, 0
	s_mov_b32 s4, exec_lo
	v_cmpx_ne_u32_e32 0, v0
	s_cbranch_execz .LBB10_94
; %bb.91:
	v_add_nc_u32_e32 v2, v11, v12
	v_mad_u32_u24 v3, v12, s14, v7
	s_lshl_b32 s22, s14, 3
	s_delay_alu instid0(VALU_DEP_2) | instskip(NEXT) | instid1(VALU_DEP_2)
	v_lshl_add_u32 v2, v2, 3, 0x800
	v_lshl_add_u32 v3, v3, 3, 0x1800
	.p2align	6
.LBB10_92:                              ; =>This Inner Loop Header: Depth=1
	ds_load_b64 v[4:5], v3
	ds_load_b64 v[11:12], v2
	v_add_nc_u32_e32 v2, 8, v2
	v_add_nc_u32_e32 v0, -1, v0
	v_add_nc_u32_e32 v3, s22, v3
	s_delay_alu instid0(VALU_DEP_2) | instskip(SKIP_4) | instid1(VALU_DEP_2)
	v_cmp_eq_u32_e32 vcc_lo, 0, v0
	s_or_b32 s19, vcc_lo, s19
	s_waitcnt lgkmcnt(0)
	v_mul_f32_e32 v13, v4, v11
	v_mul_f32_e32 v4, v4, v12
	v_fma_f32 v12, v5, v12, -v13
	s_delay_alu instid0(VALU_DEP_2) | instskip(NEXT) | instid1(VALU_DEP_2)
	v_fma_f32 v4, v11, -v5, -v4
	v_add_f32_e32 v10, v10, v12
	s_delay_alu instid0(VALU_DEP_2)
	v_add_f32_e32 v6, v6, v4
	s_and_not1_b32 exec_lo, exec_lo, s19
	s_cbranch_execnz .LBB10_92
; %bb.93:
	s_or_b32 exec_lo, exec_lo, s19
.LBB10_94:
	s_delay_alu instid0(SALU_CYCLE_1) | instskip(SKIP_3) | instid1(VALU_DEP_2)
	s_or_b32 exec_lo, exec_lo, s4
	v_mad_i64_i32 v[2:3], null, v8, s6, 0
	v_add_lshl_u32 v0, s14, v7, 3
	s_or_b32 s17, s17, exec_lo
	v_lshlrev_b64 v[2:3], 3, v[2:3]
	s_delay_alu instid0(VALU_DEP_1) | instskip(NEXT) | instid1(VALU_DEP_2)
	v_add_co_u32 v2, vcc_lo, s15, v2
	v_add_co_ci_u32_e32 v3, vcc_lo, s16, v3, vcc_lo
	s_delay_alu instid0(VALU_DEP_2) | instskip(NEXT) | instid1(VALU_DEP_2)
	v_add_co_u32 v2, vcc_lo, v2, v0
	v_add_co_ci_u32_e32 v3, vcc_lo, 0, v3, vcc_lo
	global_store_b32 v[2:3], v10, off
.LBB10_95:
	s_or_b32 exec_lo, exec_lo, s18
.LBB10_96:
	s_and_saveexec_b32 s4, s17
	s_cbranch_execnz .LBB10_98
; %bb.97:
	s_or_b32 exec_lo, exec_lo, s4
	s_and_saveexec_b32 s4, s3
	s_cbranch_execnz .LBB10_99
	s_branch .LBB10_110
.LBB10_98:
	global_store_b32 v[2:3], v6, off offset:4
	s_or_b32 exec_lo, exec_lo, s4
	s_and_saveexec_b32 s4, s3
	s_cbranch_execz .LBB10_110
.LBB10_99:
	v_mov_b32_e32 v3, 0
	v_mov_b32_e32 v4, 0
	s_and_saveexec_b32 s3, s2
	s_cbranch_execnz .LBB10_102
; %bb.100:
	s_or_b32 exec_lo, exec_lo, s3
	s_delay_alu instid0(SALU_CYCLE_1)
	s_and_b32 vcc_lo, exec_lo, s5
	s_mov_b32 s2, -1
	s_cbranch_vccnz .LBB10_103
.LBB10_101:
	s_and_not1_b32 vcc_lo, exec_lo, s2
	s_cbranch_vccz .LBB10_107
	s_branch .LBB10_110
.LBB10_102:
	s_add_u32 s2, s6, 1
	s_addc_u32 s4, s7, 0
	s_mul_hi_u32 s17, s2, s14
	s_mul_i32 s4, s4, s14
	s_mul_i32 s18, s2, s14
	s_add_i32 s19, s17, s4
	s_delay_alu instid0(SALU_CYCLE_1) | instskip(SKIP_1) | instid1(SALU_CYCLE_1)
	v_dual_mov_b32 v3, s18 :: v_dual_mov_b32 v4, s19
	s_or_b32 exec_lo, exec_lo, s3
	s_and_b32 vcc_lo, exec_lo, s5
	s_mov_b32 s2, -1
	s_cbranch_vccz .LBB10_101
.LBB10_103:
	s_mov_b32 s2, exec_lo
	v_cmpx_gt_i32_e64 s14, v1
	s_cbranch_execz .LBB10_106
; %bb.104:
	s_cmp_lt_u32 s28, 16
	v_ashrrev_i32_e32 v2, 31, v1
	s_cselect_b32 s3, s28, 16
	s_cselect_b32 s4, 0, 0
	s_add_u32 s3, s3, -1
	s_addc_u32 s4, s4, -1
	s_mul_i32 s5, s3, s7
	s_mul_hi_u32 s17, s3, s6
	s_mul_i32 s4, s4, s6
	s_add_i32 s5, s17, s5
	v_lshlrev_b64 v[5:6], 3, v[3:4]
	s_add_i32 s5, s5, s4
	s_mul_i32 s4, s3, s6
	v_lshlrev_b64 v[7:8], 3, v[1:2]
	s_lshl_b64 s[4:5], s[4:5], 3
	v_xad_u32 v0, v1, -1, s14
	s_add_u32 s3, s4, s12
	s_addc_u32 s4, s5, s13
	s_add_u32 s3, s3, s8
	s_addc_u32 s4, s4, s9
	s_add_u32 s3, s3, s10
	s_addc_u32 s4, s4, s11
	s_add_u32 s0, s0, s3
	s_addc_u32 s1, s1, s4
	v_add_co_u32 v2, vcc_lo, s0, v5
	v_add_co_ci_u32_e32 v5, vcc_lo, s1, v6, vcc_lo
	v_lshl_add_u32 v0, v0, 3, v9
	s_delay_alu instid0(VALU_DEP_3) | instskip(NEXT) | instid1(VALU_DEP_3)
	v_add_co_u32 v2, vcc_lo, v2, v7
	v_add_co_ci_u32_e32 v6, vcc_lo, v5, v8, vcc_lo
	s_lshl_b64 s[4:5], s[6:7], 3
	s_delay_alu instid0(VALU_DEP_2) | instskip(NEXT) | instid1(VALU_DEP_2)
	v_add_co_u32 v5, vcc_lo, s20, v2
	v_add_co_ci_u32_e32 v6, vcc_lo, s21, v6, vcc_lo
	s_sub_u32 s3, 0, s4
	s_mov_b32 s1, 0
	s_subb_u32 s4, 0, s5
	s_lshl_b32 s5, s14, 3
	s_mov_b32 s8, s14
.LBB10_105:                             ; =>This Inner Loop Header: Depth=1
	ds_load_b64 v[7:8], v0
	s_add_i32 s8, s8, -1
	v_add_nc_u32_e32 v0, s5, v0
	v_cmp_le_i32_e32 vcc_lo, s8, v1
	s_or_b32 s1, vcc_lo, s1
	s_waitcnt lgkmcnt(0)
	global_store_b64 v[5:6], v[7:8], off
	v_add_co_u32 v5, s0, v5, s3
	s_delay_alu instid0(VALU_DEP_1)
	v_add_co_ci_u32_e64 v6, s0, s4, v6, s0
	s_and_not1_b32 exec_lo, exec_lo, s1
	s_cbranch_execnz .LBB10_105
.LBB10_106:
	s_or_b32 exec_lo, exec_lo, s2
	s_cbranch_execnz .LBB10_110
.LBB10_107:
	v_cmp_lt_i32_e32 vcc_lo, -1, v1
	s_and_b32 exec_lo, exec_lo, vcc_lo
	s_cbranch_execz .LBB10_110
; %bb.108:
	v_mov_b32_e32 v2, 0
	v_lshlrev_b64 v[3:4], 3, v[3:4]
	v_lshl_add_u32 v0, v1, 3, v9
	s_lshl_b64 s[2:3], s[6:7], 3
	s_lshl_b32 s1, s14, 3
	v_lshlrev_b64 v[5:6], 3, v[1:2]
	v_add_nc_u32_e32 v1, 1, v1
	v_add_co_u32 v2, vcc_lo, s15, v3
	v_add_co_ci_u32_e32 v3, vcc_lo, s16, v4, vcc_lo
	s_mov_b32 s4, 0
	s_delay_alu instid0(VALU_DEP_2) | instskip(NEXT) | instid1(VALU_DEP_2)
	v_add_co_u32 v2, vcc_lo, v2, v5
	v_add_co_ci_u32_e32 v3, vcc_lo, v3, v6, vcc_lo
.LBB10_109:                             ; =>This Inner Loop Header: Depth=1
	ds_load_b64 v[4:5], v0
	v_add_nc_u32_e32 v1, -1, v1
	v_add_nc_u32_e32 v0, s1, v0
	s_delay_alu instid0(VALU_DEP_2) | instskip(SKIP_4) | instid1(VALU_DEP_1)
	v_cmp_eq_u32_e32 vcc_lo, 0, v1
	s_or_b32 s4, vcc_lo, s4
	s_waitcnt lgkmcnt(0)
	global_store_b64 v[2:3], v[4:5], off
	v_add_co_u32 v2, s0, v2, s2
	v_add_co_ci_u32_e64 v3, s0, s3, v3, s0
	s_and_not1_b32 exec_lo, exec_lo, s4
	s_cbranch_execnz .LBB10_109
.LBB10_110:
	s_nop 0
	s_sendmsg sendmsg(MSG_DEALLOC_VGPRS)
	s_endpgm
	.section	.rodata,"a",@progbits
	.p2align	6, 0x0
	.amdhsa_kernel _ZL29rocblas_trtri_diagonal_kernelILi16E19rocblas_complex_numIfEPKS1_PS1_Ev13rocblas_fill_17rocblas_diagonal_iT1_lillT2_lilli
		.amdhsa_group_segment_fixed_size 8192
		.amdhsa_private_segment_fixed_size 0
		.amdhsa_kernarg_size 100
		.amdhsa_user_sgpr_count 14
		.amdhsa_user_sgpr_dispatch_ptr 0
		.amdhsa_user_sgpr_queue_ptr 0
		.amdhsa_user_sgpr_kernarg_segment_ptr 1
		.amdhsa_user_sgpr_dispatch_id 0
		.amdhsa_user_sgpr_private_segment_size 0
		.amdhsa_wavefront_size32 1
		.amdhsa_uses_dynamic_stack 0
		.amdhsa_enable_private_segment 0
		.amdhsa_system_sgpr_workgroup_id_x 1
		.amdhsa_system_sgpr_workgroup_id_y 0
		.amdhsa_system_sgpr_workgroup_id_z 1
		.amdhsa_system_sgpr_workgroup_info 0
		.amdhsa_system_vgpr_workitem_id 0
		.amdhsa_next_free_vgpr 55
		.amdhsa_next_free_sgpr 40
		.amdhsa_reserve_vcc 1
		.amdhsa_float_round_mode_32 0
		.amdhsa_float_round_mode_16_64 0
		.amdhsa_float_denorm_mode_32 3
		.amdhsa_float_denorm_mode_16_64 3
		.amdhsa_dx10_clamp 1
		.amdhsa_ieee_mode 1
		.amdhsa_fp16_overflow 0
		.amdhsa_workgroup_processor_mode 1
		.amdhsa_memory_ordered 1
		.amdhsa_forward_progress 0
		.amdhsa_shared_vgpr_count 0
		.amdhsa_exception_fp_ieee_invalid_op 0
		.amdhsa_exception_fp_denorm_src 0
		.amdhsa_exception_fp_ieee_div_zero 0
		.amdhsa_exception_fp_ieee_overflow 0
		.amdhsa_exception_fp_ieee_underflow 0
		.amdhsa_exception_fp_ieee_inexact 0
		.amdhsa_exception_int_div_zero 0
	.end_amdhsa_kernel
	.section	.text._ZL29rocblas_trtri_diagonal_kernelILi16E19rocblas_complex_numIfEPKS1_PS1_Ev13rocblas_fill_17rocblas_diagonal_iT1_lillT2_lilli,"axG",@progbits,_ZL29rocblas_trtri_diagonal_kernelILi16E19rocblas_complex_numIfEPKS1_PS1_Ev13rocblas_fill_17rocblas_diagonal_iT1_lillT2_lilli,comdat
.Lfunc_end10:
	.size	_ZL29rocblas_trtri_diagonal_kernelILi16E19rocblas_complex_numIfEPKS1_PS1_Ev13rocblas_fill_17rocblas_diagonal_iT1_lillT2_lilli, .Lfunc_end10-_ZL29rocblas_trtri_diagonal_kernelILi16E19rocblas_complex_numIfEPKS1_PS1_Ev13rocblas_fill_17rocblas_diagonal_iT1_lillT2_lilli
                                        ; -- End function
	.section	.AMDGPU.csdata,"",@progbits
; Kernel info:
; codeLenInByte = 5236
; NumSgprs: 42
; NumVgprs: 55
; ScratchSize: 0
; MemoryBound: 0
; FloatMode: 240
; IeeeMode: 1
; LDSByteSize: 8192 bytes/workgroup (compile time only)
; SGPRBlocks: 5
; VGPRBlocks: 6
; NumSGPRsForWavesPerEU: 42
; NumVGPRsForWavesPerEU: 55
; Occupancy: 16
; WaveLimiterHint : 0
; COMPUTE_PGM_RSRC2:SCRATCH_EN: 0
; COMPUTE_PGM_RSRC2:USER_SGPR: 14
; COMPUTE_PGM_RSRC2:TRAP_HANDLER: 0
; COMPUTE_PGM_RSRC2:TGID_X_EN: 1
; COMPUTE_PGM_RSRC2:TGID_Y_EN: 0
; COMPUTE_PGM_RSRC2:TGID_Z_EN: 1
; COMPUTE_PGM_RSRC2:TIDIG_COMP_CNT: 0
	.section	.text._ZL30rocblas_trtri_remainder_kernelILi16E19rocblas_complex_numIfEPKS1_PS1_Ev13rocblas_fill_17rocblas_diagonal_iT1_lillT2_lilli,"axG",@progbits,_ZL30rocblas_trtri_remainder_kernelILi16E19rocblas_complex_numIfEPKS1_PS1_Ev13rocblas_fill_17rocblas_diagonal_iT1_lillT2_lilli,comdat
	.globl	_ZL30rocblas_trtri_remainder_kernelILi16E19rocblas_complex_numIfEPKS1_PS1_Ev13rocblas_fill_17rocblas_diagonal_iT1_lillT2_lilli ; -- Begin function _ZL30rocblas_trtri_remainder_kernelILi16E19rocblas_complex_numIfEPKS1_PS1_Ev13rocblas_fill_17rocblas_diagonal_iT1_lillT2_lilli
	.p2align	8
	.type	_ZL30rocblas_trtri_remainder_kernelILi16E19rocblas_complex_numIfEPKS1_PS1_Ev13rocblas_fill_17rocblas_diagonal_iT1_lillT2_lilli,@function
_ZL30rocblas_trtri_remainder_kernelILi16E19rocblas_complex_numIfEPKS1_PS1_Ev13rocblas_fill_17rocblas_diagonal_iT1_lillT2_lilli: ; @_ZL30rocblas_trtri_remainder_kernelILi16E19rocblas_complex_numIfEPKS1_PS1_Ev13rocblas_fill_17rocblas_diagonal_iT1_lillT2_lilli
; %bb.0:
	s_load_b128 s[16:19], s[0:1], 0x0
	s_waitcnt lgkmcnt(0)
	s_cmp_lt_i32 s18, 1
	s_cbranch_scc1 .LBB11_53
; %bb.1:
	s_load_b256 s[4:11], s[0:1], 0x28
	v_cmp_le_u32_e64 s3, s18, v0
	v_cmp_gt_u32_e64 s2, s18, v0
	s_delay_alu instid0(VALU_DEP_1)
	s_and_saveexec_b32 s19, s2
	s_cbranch_execz .LBB11_14
; %bb.2:
	s_clause 0x1
	s_load_b128 s[20:23], s[0:1], 0x10
	s_load_b32 s12, s[0:1], 0x20
	s_waitcnt lgkmcnt(0)
	s_mul_i32 s5, s15, s5
	s_mul_hi_u32 s13, s15, s4
	s_mul_i32 s24, s15, s4
	s_add_i32 s25, s13, s5
	s_mul_i32 s5, s14, s7
	s_mul_hi_u32 s7, s14, s6
	s_mul_i32 s6, s14, s6
	s_add_i32 s7, s7, s5
	s_cmpk_lg_i32 s16, 0x7a
	s_mov_b32 s4, -1
	s_cbranch_scc0 .LBB11_6
; %bb.3:
	s_ashr_i32 s13, s12, 31
	s_lshl_b32 s5, s18, 3
	s_ashr_i32 s4, s18, 31
	s_add_u32 s26, s18, -1
	s_addc_u32 s4, s4, -1
	s_mul_i32 s27, s26, s13
	s_mul_hi_u32 s28, s26, s12
	s_mul_i32 s4, s4, s12
	s_add_i32 s27, s28, s27
	s_mul_i32 s26, s26, s12
	s_add_i32 s27, s27, s4
	s_lshl_b64 s[28:29], s[6:7], 3
	s_lshl_b64 s[26:27], s[26:27], 3
	v_lshlrev_b32_e32 v1, 3, v0
	s_add_u32 s4, s26, s28
	s_addc_u32 s28, s27, s29
	s_lshl_b64 s[26:27], s[24:25], 3
	s_delay_alu instid0(SALU_CYCLE_1)
	s_add_u32 s4, s4, s26
	s_addc_u32 s28, s28, s27
	s_lshl_b64 s[26:27], s[22:23], 3
	v_sub_nc_u32_e32 v2, s5, v1
	s_add_u32 s4, s4, s26
	s_addc_u32 s26, s28, s27
	s_add_u32 s4, s20, s4
	s_addc_u32 s28, s21, s26
	v_add_co_u32 v1, s4, s4, v1
	v_add_nc_u32_e32 v3, -8, v2
	s_lshl_b64 s[26:27], s[12:13], 3
	v_add_co_ci_u32_e64 v2, null, s28, 0, s4
	s_sub_u32 s13, 0, s26
	s_subb_u32 s27, 0, s27
	s_mov_b32 s26, 0
	s_mov_b32 s28, s18
.LBB11_4:                               ; =>This Inner Loop Header: Depth=1
	global_load_b64 v[4:5], v[1:2], off
	s_add_i32 s28, s28, -1
	v_add_co_u32 v1, vcc_lo, v1, s13
	v_cmp_le_i32_e64 s4, s28, v0
	v_add_co_ci_u32_e32 v2, vcc_lo, s27, v2, vcc_lo
	s_delay_alu instid0(VALU_DEP_2)
	s_or_b32 s26, s4, s26
	s_waitcnt vmcnt(0)
	ds_store_b64 v3, v[4:5]
	v_add_nc_u32_e32 v3, s5, v3
	s_and_not1_b32 exec_lo, exec_lo, s26
	s_cbranch_execnz .LBB11_4
; %bb.5:
	s_or_b32 exec_lo, exec_lo, s26
	s_mov_b32 s4, 0
.LBB11_6:
	s_delay_alu instid0(SALU_CYCLE_1)
	s_and_b32 vcc_lo, exec_lo, s4
	s_cbranch_vccz .LBB11_14
; %bb.7:
	v_dual_mov_b32 v3, 0 :: v_dual_add_nc_u32 v4, 1, v0
	s_ashr_i32 s13, s12, 31
	s_mov_b32 s5, exec_lo
	v_cmpx_lt_u32_e32 2, v0
	s_cbranch_execz .LBB11_11
; %bb.8:
	s_lshl_b64 s[26:27], s[24:25], 3
	v_lshlrev_b32_e32 v5, 3, v0
	s_add_u32 s4, s20, s26
	s_addc_u32 s28, s21, s27
	s_lshl_b64 s[26:27], s[22:23], 3
	v_and_b32_e32 v3, 0x7fc, v4
	s_add_u32 s4, s4, s26
	s_addc_u32 s28, s28, s27
	s_lshl_b64 s[26:27], s[6:7], 3
	s_mul_hi_i32 s33, s12, 24
	s_add_u32 s4, s4, s26
	s_addc_u32 s26, s28, s27
	v_add_co_u32 v1, s4, s4, v5
	s_delay_alu instid0(VALU_DEP_1)
	v_add_co_ci_u32_e64 v2, null, s26, 0, s4
	s_mul_i32 s34, s12, 24
	s_lshl_b64 s[26:27], s[12:13], 5
	s_lshl_b64 s[28:29], s[12:13], 4
	;; [unrolled: 1-line block ×3, first 2 shown]
	s_lshl_b32 s35, s18, 3
	s_lshl_b32 s36, s18, 5
	s_lshl_b32 s37, s18, 4
	s_mul_i32 s39, s18, 24
	s_mov_b32 s38, 0
	s_mov_b32 s40, 0
	s_set_inst_prefetch_distance 0x1
	.p2align	6
.LBB11_9:                               ; =>This Inner Loop Header: Depth=1
	v_add_co_u32 v6, vcc_lo, v1, s30
	v_add_co_ci_u32_e32 v7, vcc_lo, s31, v2, vcc_lo
	v_add_co_u32 v8, vcc_lo, v1, s28
	v_add_co_ci_u32_e32 v9, vcc_lo, s29, v2, vcc_lo
	;; [unrolled: 2-line block ×3, first 2 shown]
	s_clause 0x3
	global_load_b64 v[12:13], v[1:2], off
	global_load_b64 v[6:7], v[6:7], off
	;; [unrolled: 1-line block ×4, first 2 shown]
	s_add_i32 s40, s40, 4
	v_add_co_u32 v1, s4, v1, s26
	v_cmp_eq_u32_e32 vcc_lo, s40, v3
	v_add_nc_u32_e32 v14, s35, v5
	v_add_nc_u32_e32 v15, s37, v5
	;; [unrolled: 1-line block ×3, first 2 shown]
	v_add_co_ci_u32_e64 v2, s4, s27, v2, s4
	s_or_b32 s38, vcc_lo, s38
	s_waitcnt vmcnt(3)
	ds_store_b64 v5, v[12:13]
	v_add_nc_u32_e32 v5, s36, v5
	s_waitcnt vmcnt(2)
	ds_store_b64 v14, v[6:7]
	s_waitcnt vmcnt(1)
	ds_store_b64 v15, v[8:9]
	;; [unrolled: 2-line block ×3, first 2 shown]
	s_and_not1_b32 exec_lo, exec_lo, s38
	s_cbranch_execnz .LBB11_9
; %bb.10:
	s_set_inst_prefetch_distance 0x2
	s_or_b32 exec_lo, exec_lo, s38
.LBB11_11:
	s_delay_alu instid0(SALU_CYCLE_1) | instskip(SKIP_2) | instid1(VALU_DEP_1)
	s_or_b32 exec_lo, exec_lo, s5
	v_and_b32_e32 v4, 3, v4
	s_mov_b32 s5, 0
	v_cmp_ne_u32_e32 vcc_lo, 0, v4
	s_and_b32 exec_lo, exec_lo, vcc_lo
	s_cbranch_execz .LBB11_14
; %bb.12:
	v_mad_i64_i32 v[1:2], null, s12, v3, 0
	s_lshl_b64 s[6:7], s[6:7], 3
	s_lshl_b64 s[26:27], s[24:25], 3
	s_lshl_b32 s24, s18, 3
	s_add_u32 s4, s6, s26
	s_addc_u32 s25, s7, s27
	s_lshl_b64 s[6:7], s[22:23], 3
	s_delay_alu instid0(VALU_DEP_1) | instskip(SKIP_4) | instid1(VALU_DEP_3)
	v_lshlrev_b64 v[1:2], 3, v[1:2]
	s_add_u32 s4, s6, s4
	v_lshlrev_b32_e32 v5, 3, v0
	s_addc_u32 s6, s7, s25
	v_mul_lo_u32 v3, v3, s18
	v_add_co_u32 v1, vcc_lo, s4, v1
	v_add_co_ci_u32_e32 v2, vcc_lo, s6, v2, vcc_lo
	s_lshl_b64 s[6:7], s[12:13], 3
	s_delay_alu instid0(VALU_DEP_2) | instskip(NEXT) | instid1(VALU_DEP_2)
	v_add_co_u32 v1, vcc_lo, v1, v5
	v_add_co_ci_u32_e32 v2, vcc_lo, 0, v2, vcc_lo
	v_add_lshl_u32 v3, v0, v3, 3
	s_delay_alu instid0(VALU_DEP_3) | instskip(NEXT) | instid1(VALU_DEP_3)
	v_add_co_u32 v1, vcc_lo, s20, v1
	v_add_co_ci_u32_e32 v2, vcc_lo, s21, v2, vcc_lo
.LBB11_13:                              ; =>This Inner Loop Header: Depth=1
	global_load_b64 v[5:6], v[1:2], off
	v_add_nc_u32_e32 v4, -1, v4
	v_add_co_u32 v1, vcc_lo, v1, s6
	v_add_co_ci_u32_e32 v2, vcc_lo, s7, v2, vcc_lo
	s_delay_alu instid0(VALU_DEP_3) | instskip(NEXT) | instid1(VALU_DEP_1)
	v_cmp_eq_u32_e64 s4, 0, v4
	s_or_b32 s5, s4, s5
	s_waitcnt vmcnt(0)
	ds_store_b64 v3, v[5:6]
	v_add_nc_u32_e32 v3, s24, v3
	s_and_not1_b32 exec_lo, exec_lo, s5
	s_cbranch_execnz .LBB11_13
.LBB11_14:
	s_or_b32 exec_lo, exec_lo, s19
	s_waitcnt lgkmcnt(0)
	s_barrier
	buffer_gl0_inv
                                        ; implicit-def: $vgpr1
	s_and_saveexec_b32 s4, s3
	s_delay_alu instid0(SALU_CYCLE_1)
	s_xor_b32 s3, exec_lo, s4
; %bb.15:
	v_mad_u64_u32 v[1:2], null, v0, s18, v[0:1]
; %bb.16:
	s_and_not1_saveexec_b32 s4, s3
	s_cbranch_execz .LBB11_29
; %bb.17:
	s_delay_alu instid0(VALU_DEP_1) | instskip(SKIP_1) | instid1(VALU_DEP_1)
	v_mad_u64_u32 v[1:2], null, v0, s18, v[0:1]
	s_cmpk_lg_i32 s17, 0x84
	v_lshlrev_b32_e32 v6, 3, v1
	s_cbranch_scc0 .LBB11_27
; %bb.18:
	ds_load_b64 v[2:3], v6
	s_waitcnt lgkmcnt(0)
	v_cmp_neq_f32_e32 vcc_lo, 0, v2
	v_cmp_neq_f32_e64 s3, 0, v3
	s_delay_alu instid0(VALU_DEP_1) | instskip(NEXT) | instid1(SALU_CYCLE_1)
	s_or_b32 s3, vcc_lo, s3
	s_and_saveexec_b32 s5, s3
	s_delay_alu instid0(SALU_CYCLE_1)
	s_xor_b32 s3, exec_lo, s5
	s_cbranch_execz .LBB11_24
; %bb.19:
	v_cmp_gt_f32_e32 vcc_lo, 0, v2
	v_cndmask_b32_e64 v4, v2, -v2, vcc_lo
	v_cmp_gt_f32_e32 vcc_lo, 0, v3
	v_cndmask_b32_e64 v5, v3, -v3, vcc_lo
	s_delay_alu instid0(VALU_DEP_1) | instskip(SKIP_1) | instid1(SALU_CYCLE_1)
	v_cmp_ngt_f32_e32 vcc_lo, v4, v5
                                        ; implicit-def: $vgpr4
	s_and_saveexec_b32 s5, vcc_lo
	s_xor_b32 s5, exec_lo, s5
	s_cbranch_execz .LBB11_21
; %bb.20:
	v_div_scale_f32 v4, null, v3, v3, v2
	v_div_scale_f32 v8, vcc_lo, v2, v3, v2
	s_delay_alu instid0(VALU_DEP_2) | instskip(SKIP_2) | instid1(VALU_DEP_1)
	v_rcp_f32_e32 v5, v4
	s_waitcnt_depctr 0xfff
	v_fma_f32 v7, -v4, v5, 1.0
	v_fmac_f32_e32 v5, v7, v5
	s_delay_alu instid0(VALU_DEP_1) | instskip(NEXT) | instid1(VALU_DEP_1)
	v_mul_f32_e32 v7, v8, v5
	v_fma_f32 v9, -v4, v7, v8
	s_delay_alu instid0(VALU_DEP_1) | instskip(NEXT) | instid1(VALU_DEP_1)
	v_fmac_f32_e32 v7, v9, v5
	v_fma_f32 v4, -v4, v7, v8
	s_delay_alu instid0(VALU_DEP_1) | instskip(NEXT) | instid1(VALU_DEP_1)
	v_div_fmas_f32 v4, v4, v5, v7
	v_div_fixup_f32 v4, v4, v3, v2
	s_delay_alu instid0(VALU_DEP_1) | instskip(NEXT) | instid1(VALU_DEP_1)
	v_fmac_f32_e32 v3, v2, v4
	v_div_scale_f32 v2, null, v3, v3, 1.0
	v_div_scale_f32 v8, vcc_lo, 1.0, v3, 1.0
	s_delay_alu instid0(VALU_DEP_2) | instskip(SKIP_2) | instid1(VALU_DEP_1)
	v_rcp_f32_e32 v5, v2
	s_waitcnt_depctr 0xfff
	v_fma_f32 v7, -v2, v5, 1.0
	v_fmac_f32_e32 v5, v7, v5
	s_delay_alu instid0(VALU_DEP_1) | instskip(NEXT) | instid1(VALU_DEP_1)
	v_mul_f32_e32 v7, v8, v5
	v_fma_f32 v9, -v2, v7, v8
	s_delay_alu instid0(VALU_DEP_1) | instskip(NEXT) | instid1(VALU_DEP_1)
	v_fmac_f32_e32 v7, v9, v5
	v_fma_f32 v2, -v2, v7, v8
	s_delay_alu instid0(VALU_DEP_1) | instskip(NEXT) | instid1(VALU_DEP_1)
	v_div_fmas_f32 v2, v2, v5, v7
	v_div_fixup_f32 v2, v2, v3, 1.0
	s_delay_alu instid0(VALU_DEP_1)
	v_mul_f32_e32 v4, v4, v2
	v_xor_b32_e32 v5, 0x80000000, v2
                                        ; implicit-def: $vgpr2_vgpr3
.LBB11_21:
	s_and_not1_saveexec_b32 s5, s5
	s_cbranch_execz .LBB11_23
; %bb.22:
	v_div_scale_f32 v4, null, v2, v2, v3
	v_div_scale_f32 v8, vcc_lo, v3, v2, v3
	s_delay_alu instid0(VALU_DEP_2) | instskip(SKIP_2) | instid1(VALU_DEP_1)
	v_rcp_f32_e32 v5, v4
	s_waitcnt_depctr 0xfff
	v_fma_f32 v7, -v4, v5, 1.0
	v_fmac_f32_e32 v5, v7, v5
	s_delay_alu instid0(VALU_DEP_1) | instskip(NEXT) | instid1(VALU_DEP_1)
	v_mul_f32_e32 v7, v8, v5
	v_fma_f32 v9, -v4, v7, v8
	s_delay_alu instid0(VALU_DEP_1) | instskip(NEXT) | instid1(VALU_DEP_1)
	v_fmac_f32_e32 v7, v9, v5
	v_fma_f32 v4, -v4, v7, v8
	s_delay_alu instid0(VALU_DEP_1) | instskip(NEXT) | instid1(VALU_DEP_1)
	v_div_fmas_f32 v4, v4, v5, v7
	v_div_fixup_f32 v5, v4, v2, v3
	s_delay_alu instid0(VALU_DEP_1) | instskip(NEXT) | instid1(VALU_DEP_1)
	v_fmac_f32_e32 v2, v3, v5
	v_div_scale_f32 v3, null, v2, v2, 1.0
	s_delay_alu instid0(VALU_DEP_1) | instskip(SKIP_2) | instid1(VALU_DEP_1)
	v_rcp_f32_e32 v4, v3
	s_waitcnt_depctr 0xfff
	v_fma_f32 v7, -v3, v4, 1.0
	v_fmac_f32_e32 v4, v7, v4
	v_div_scale_f32 v7, vcc_lo, 1.0, v2, 1.0
	s_delay_alu instid0(VALU_DEP_1) | instskip(NEXT) | instid1(VALU_DEP_1)
	v_mul_f32_e32 v8, v7, v4
	v_fma_f32 v9, -v3, v8, v7
	s_delay_alu instid0(VALU_DEP_1) | instskip(NEXT) | instid1(VALU_DEP_1)
	v_fmac_f32_e32 v8, v9, v4
	v_fma_f32 v3, -v3, v8, v7
	s_delay_alu instid0(VALU_DEP_1) | instskip(NEXT) | instid1(VALU_DEP_1)
	v_div_fmas_f32 v3, v3, v4, v8
	v_div_fixup_f32 v4, v3, v2, 1.0
	s_delay_alu instid0(VALU_DEP_1)
	v_mul_f32_e64 v5, v5, -v4
.LBB11_23:
	s_or_b32 exec_lo, exec_lo, s5
	ds_store_b64 v6, v[4:5]
.LBB11_24:
	s_and_not1_saveexec_b32 s3, s3
	s_cbranch_execz .LBB11_26
; %bb.25:
	v_dual_mov_b32 v2, 1.0 :: v_dual_mov_b32 v3, 0
	ds_store_b64 v6, v[2:3]
.LBB11_26:
	s_or_b32 exec_lo, exec_lo, s3
	s_cbranch_execz .LBB11_28
	s_branch .LBB11_29
.LBB11_27:
.LBB11_28:
	v_dual_mov_b32 v2, 1.0 :: v_dual_mov_b32 v3, 0
	ds_store_b64 v6, v[2:3]
.LBB11_29:
	s_or_b32 exec_lo, exec_lo, s4
	s_delay_alu instid0(VALU_DEP_1)
	v_lshlrev_b32_e32 v1, 3, v1
	v_add_lshl_u32 v2, v0, s18, 3
	s_lshl_b32 s19, s18, 3
	s_mov_b32 s3, 8
	s_add_i32 s4, s19, 8
	s_mov_b32 s5, 0
	s_waitcnt lgkmcnt(0)
	s_barrier
	buffer_gl0_inv
	s_branch .LBB11_31
.LBB11_30:                              ;   in Loop: Header=BB11_31 Depth=1
	s_set_inst_prefetch_distance 0x2
	v_add_nc_u32_e32 v2, s19, v2
	s_add_i32 s3, s3, s4
	s_cmp_eq_u32 s5, s18
	s_barrier
	buffer_gl0_inv
	s_cbranch_scc1 .LBB11_40
.LBB11_31:                              ; =>This Loop Header: Depth=1
                                        ;     Child Loop BB11_36 Depth 2
	s_mul_i32 s7, s5, s18
	v_dual_mov_b32 v4, 0 :: v_dual_mov_b32 v5, 0
	v_add_lshl_u32 v3, s7, v0, 3
	s_mov_b32 s6, exec_lo
	v_cmpx_lt_u32_e64 s5, v0
	s_cbranch_execz .LBB11_33
; %bb.32:                               ;   in Loop: Header=BB11_31 Depth=1
	s_add_i32 s7, s7, s5
	s_delay_alu instid0(SALU_CYCLE_1) | instskip(NEXT) | instid1(SALU_CYCLE_1)
	s_lshl_b32 s7, s7, 3
	v_mov_b32_e32 v6, s7
	ds_load_b64 v[4:5], v3
	ds_load_b64 v[6:7], v6
	s_waitcnt lgkmcnt(0)
	v_mul_f32_e32 v8, v7, v5
	v_mul_f32_e32 v5, v6, v5
	s_delay_alu instid0(VALU_DEP_2) | instskip(NEXT) | instid1(VALU_DEP_1)
	v_fma_f32 v6, v6, v4, -v8
	v_dual_fmac_f32 v5, v7, v4 :: v_dual_add_f32 v4, 0, v6
	s_delay_alu instid0(VALU_DEP_1)
	v_add_f32_e32 v5, 0, v5
.LBB11_33:                              ;   in Loop: Header=BB11_31 Depth=1
	s_or_b32 exec_lo, exec_lo, s6
	s_add_i32 s5, s5, 1
	s_delay_alu instid0(SALU_CYCLE_1)
	s_cmp_ge_i32 s5, s18
	s_barrier
	buffer_gl0_inv
	s_cbranch_scc1 .LBB11_30
; %bb.34:                               ;   in Loop: Header=BB11_31 Depth=1
	v_mov_b32_e32 v6, v2
	s_mov_b32 s6, s3
	s_mov_b32 s7, s5
	s_set_inst_prefetch_distance 0x1
	s_branch .LBB11_36
	.p2align	6
.LBB11_35:                              ;   in Loop: Header=BB11_36 Depth=2
	s_or_b32 exec_lo, exec_lo, s12
	v_add_nc_u32_e32 v6, s19, v6
	s_add_i32 s7, s7, 1
	s_add_i32 s6, s6, 8
	s_cmp_ge_i32 s7, s18
	s_barrier
	buffer_gl0_inv
	s_cbranch_scc1 .LBB11_30
.LBB11_36:                              ;   Parent Loop BB11_31 Depth=1
                                        ; =>  This Inner Loop Header: Depth=2
	s_mov_b32 s12, exec_lo
	v_cmpx_eq_u32_e64 s7, v0
	s_cbranch_execz .LBB11_38
; %bb.37:                               ;   in Loop: Header=BB11_36 Depth=2
	ds_load_b64 v[7:8], v1
	s_waitcnt lgkmcnt(0)
	v_dual_sub_f32 v10, 0, v4 :: v_dual_mul_f32 v11, v5, v7
	v_mul_f32_e32 v9, v5, v8
	s_delay_alu instid0(VALU_DEP_1) | instskip(NEXT) | instid1(VALU_DEP_3)
	v_fmac_f32_e32 v9, v10, v7
	v_fma_f32 v10, -v4, v8, -v11
	ds_store_b64 v3, v[9:10]
.LBB11_38:                              ;   in Loop: Header=BB11_36 Depth=2
	s_or_b32 exec_lo, exec_lo, s12
	s_delay_alu instid0(SALU_CYCLE_1)
	s_mov_b32 s12, exec_lo
	s_waitcnt lgkmcnt(0)
	s_barrier
	buffer_gl0_inv
	v_cmpx_lt_u32_e64 s7, v0
	s_cbranch_execz .LBB11_35
; %bb.39:                               ;   in Loop: Header=BB11_36 Depth=2
	v_mov_b32_e32 v9, s6
	ds_load_b64 v[7:8], v6
	ds_load_b64 v[9:10], v9
	s_waitcnt lgkmcnt(0)
	v_mul_f32_e32 v11, v10, v8
	v_mul_f32_e32 v8, v9, v8
	s_delay_alu instid0(VALU_DEP_2) | instskip(NEXT) | instid1(VALU_DEP_2)
	v_fma_f32 v9, v9, v7, -v11
	v_fmac_f32_e32 v8, v10, v7
	s_delay_alu instid0(VALU_DEP_1)
	v_dual_add_f32 v4, v4, v9 :: v_dual_add_f32 v5, v5, v8
	s_branch .LBB11_35
.LBB11_40:
	s_and_saveexec_b32 s3, s2
	s_cbranch_execz .LBB11_53
; %bb.41:
	s_clause 0x1
	s_load_b128 s[4:7], s[0:1], 0x50
	s_load_b32 s2, s[0:1], 0x48
	v_lshlrev_b32_e32 v3, 3, v0
	s_waitcnt lgkmcnt(0)
	s_mul_i32 s0, s15, s5
	s_mul_hi_u32 s1, s15, s4
	s_mul_i32 s3, s14, s7
	s_mul_hi_u32 s7, s14, s6
	s_add_i32 s5, s1, s0
	s_add_i32 s7, s7, s3
	s_mul_i32 s4, s15, s4
	s_mul_i32 s6, s14, s6
	s_cmpk_lg_i32 s16, 0x7a
	s_mov_b32 s0, -1
	s_cbranch_scc0 .LBB11_45
; %bb.42:
	s_add_i32 s14, s18, -1
	s_lshl_b64 s[0:1], s[6:7], 3
	s_lshl_b64 s[12:13], s[4:5], 3
	s_ashr_i32 s3, s2, 31
	s_add_u32 s12, s0, s12
	s_mul_i32 s0, s3, s14
	s_mul_hi_u32 s15, s2, s14
	s_addc_u32 s13, s1, s13
	s_add_i32 s1, s15, s0
	s_mul_i32 s0, s2, s14
	v_lshlrev_b32_e32 v1, 3, v0
	s_lshl_b64 s[0:1], s[0:1], 3
	s_delay_alu instid0(SALU_CYCLE_1)
	s_add_u32 s12, s12, s0
	s_addc_u32 s13, s13, s1
	s_lshl_b64 s[0:1], s[10:11], 3
	v_sub_nc_u32_e32 v4, s19, v1
	s_add_u32 s0, s12, s0
	s_addc_u32 s1, s13, s1
	s_add_u32 s0, s8, s0
	s_addc_u32 s1, s9, s1
	v_add_co_u32 v1, s0, s0, v1
	s_lshl_b64 s[12:13], s[2:3], 3
	v_add_co_ci_u32_e64 v2, null, s1, 0, s0
	v_add_nc_u32_e32 v4, -8, v4
	s_sub_u32 s1, 0, s12
	s_subb_u32 s12, 0, s13
	s_mov_b32 s3, 0
	s_mov_b32 s13, s18
.LBB11_43:                              ; =>This Inner Loop Header: Depth=1
	ds_load_b64 v[5:6], v4
	s_add_i32 s13, s13, -1
	v_add_nc_u32_e32 v4, s19, v4
	v_cmp_le_i32_e32 vcc_lo, s13, v0
	s_or_b32 s3, vcc_lo, s3
	s_waitcnt lgkmcnt(0)
	global_store_b64 v[1:2], v[5:6], off
	v_add_co_u32 v1, s0, v1, s1
	s_delay_alu instid0(VALU_DEP_1)
	v_add_co_ci_u32_e64 v2, s0, s12, v2, s0
	s_and_not1_b32 exec_lo, exec_lo, s3
	s_cbranch_execnz .LBB11_43
; %bb.44:
	s_or_b32 exec_lo, exec_lo, s3
	s_mov_b32 s0, 0
.LBB11_45:
	s_delay_alu instid0(SALU_CYCLE_1)
	s_and_b32 vcc_lo, exec_lo, s0
	s_cbranch_vccz .LBB11_53
; %bb.46:
	v_dual_mov_b32 v4, 0 :: v_dual_add_nc_u32 v5, 1, v0
	s_ashr_i32 s3, s2, 31
	s_mov_b32 s1, exec_lo
	v_cmpx_lt_u32_e32 2, v0
	s_cbranch_execz .LBB11_50
; %bb.47:
	s_lshl_b64 s[12:13], s[4:5], 3
	v_and_b32_e32 v4, 0x7fc, v5
	s_add_u32 s0, s8, s12
	s_addc_u32 s14, s9, s13
	s_lshl_b64 s[12:13], s[10:11], 3
	v_mov_b32_e32 v6, v3
	s_add_u32 s0, s0, s12
	s_addc_u32 s14, s14, s13
	s_lshl_b64 s[12:13], s[6:7], 3
	s_mul_hi_i32 s20, s2, 24
	s_add_u32 s0, s0, s12
	s_addc_u32 s12, s14, s13
	v_add_co_u32 v1, s0, s0, v3
	s_delay_alu instid0(VALU_DEP_1)
	v_add_co_ci_u32_e64 v2, null, s12, 0, s0
	s_mul_i32 s21, s2, 24
	s_lshl_b64 s[12:13], s[2:3], 5
	s_lshl_b64 s[14:15], s[2:3], 4
	;; [unrolled: 1-line block ×3, first 2 shown]
	s_lshl_b32 s22, s18, 5
	s_lshl_b32 s23, s18, 4
	s_mul_i32 s25, s18, 24
	s_mov_b32 s24, 0
	s_mov_b32 s26, 0
	s_set_inst_prefetch_distance 0x1
	.p2align	6
.LBB11_48:                              ; =>This Inner Loop Header: Depth=1
	ds_load_b64 v[7:8], v6
	v_add_nc_u32_e32 v11, s19, v6
	v_add_nc_u32_e32 v13, s23, v6
	;; [unrolled: 1-line block ×3, first 2 shown]
	v_add_co_u32 v9, vcc_lo, v1, s16
	ds_load_b64 v[11:12], v11
	ds_load_b64 v[13:14], v13
	;; [unrolled: 1-line block ×3, first 2 shown]
	v_add_co_ci_u32_e32 v10, vcc_lo, s17, v2, vcc_lo
	v_add_co_u32 v17, vcc_lo, v1, s14
	v_add_co_ci_u32_e32 v18, vcc_lo, s15, v2, vcc_lo
	v_add_co_u32 v19, vcc_lo, v1, s21
	s_add_i32 s26, s26, 4
	v_add_co_ci_u32_e32 v20, vcc_lo, s20, v2, vcc_lo
	v_cmp_eq_u32_e32 vcc_lo, s26, v4
	v_add_nc_u32_e32 v6, s22, v6
	s_waitcnt lgkmcnt(3)
	global_store_b64 v[1:2], v[7:8], off
	v_add_co_u32 v1, s0, v1, s12
	s_delay_alu instid0(VALU_DEP_1)
	v_add_co_ci_u32_e64 v2, s0, s13, v2, s0
	s_or_b32 s24, vcc_lo, s24
	s_waitcnt lgkmcnt(2)
	global_store_b64 v[9:10], v[11:12], off
	s_waitcnt lgkmcnt(1)
	global_store_b64 v[17:18], v[13:14], off
	s_waitcnt lgkmcnt(0)
	global_store_b64 v[19:20], v[15:16], off
	s_and_not1_b32 exec_lo, exec_lo, s24
	s_cbranch_execnz .LBB11_48
; %bb.49:
	s_set_inst_prefetch_distance 0x2
	s_or_b32 exec_lo, exec_lo, s24
.LBB11_50:
	s_delay_alu instid0(SALU_CYCLE_1) | instskip(SKIP_2) | instid1(VALU_DEP_1)
	s_or_b32 exec_lo, exec_lo, s1
	v_and_b32_e32 v5, 3, v5
	s_mov_b32 s1, 0
	v_cmp_ne_u32_e32 vcc_lo, 0, v5
	s_and_b32 exec_lo, exec_lo, vcc_lo
	s_cbranch_execz .LBB11_53
; %bb.51:
	v_mad_i64_i32 v[1:2], null, s2, v4, 0
	s_lshl_b64 s[6:7], s[6:7], 3
	s_lshl_b64 s[4:5], s[4:5], 3
	v_mul_lo_u32 v4, v4, s18
	s_add_u32 s0, s6, s4
	s_addc_u32 s6, s7, s5
	s_lshl_b64 s[4:5], s[10:11], 3
	s_delay_alu instid0(VALU_DEP_2) | instskip(SKIP_4) | instid1(VALU_DEP_2)
	v_lshlrev_b64 v[1:2], 3, v[1:2]
	s_add_u32 s0, s4, s0
	s_addc_u32 s4, s5, s6
	s_lshl_b64 s[2:3], s[2:3], 3
	v_add_lshl_u32 v0, v0, v4, 3
	v_add_co_u32 v1, vcc_lo, s0, v1
	v_add_co_ci_u32_e32 v2, vcc_lo, s4, v2, vcc_lo
	s_delay_alu instid0(VALU_DEP_2) | instskip(NEXT) | instid1(VALU_DEP_2)
	v_add_co_u32 v1, vcc_lo, v1, v3
	v_add_co_ci_u32_e32 v2, vcc_lo, 0, v2, vcc_lo
	s_delay_alu instid0(VALU_DEP_2) | instskip(NEXT) | instid1(VALU_DEP_2)
	v_add_co_u32 v1, vcc_lo, s8, v1
	v_add_co_ci_u32_e32 v2, vcc_lo, s9, v2, vcc_lo
.LBB11_52:                              ; =>This Inner Loop Header: Depth=1
	ds_load_b64 v[3:4], v0
	v_add_nc_u32_e32 v5, -1, v5
	v_add_nc_u32_e32 v0, s19, v0
	s_delay_alu instid0(VALU_DEP_2) | instskip(SKIP_4) | instid1(VALU_DEP_1)
	v_cmp_eq_u32_e32 vcc_lo, 0, v5
	s_or_b32 s1, vcc_lo, s1
	s_waitcnt lgkmcnt(0)
	global_store_b64 v[1:2], v[3:4], off
	v_add_co_u32 v1, s0, v1, s2
	v_add_co_ci_u32_e64 v2, s0, s3, v2, s0
	s_and_not1_b32 exec_lo, exec_lo, s1
	s_cbranch_execnz .LBB11_52
.LBB11_53:
	s_nop 0
	s_sendmsg sendmsg(MSG_DEALLOC_VGPRS)
	s_endpgm
	.section	.rodata,"a",@progbits
	.p2align	6, 0x0
	.amdhsa_kernel _ZL30rocblas_trtri_remainder_kernelILi16E19rocblas_complex_numIfEPKS1_PS1_Ev13rocblas_fill_17rocblas_diagonal_iT1_lillT2_lilli
		.amdhsa_group_segment_fixed_size 8192
		.amdhsa_private_segment_fixed_size 0
		.amdhsa_kernarg_size 100
		.amdhsa_user_sgpr_count 14
		.amdhsa_user_sgpr_dispatch_ptr 0
		.amdhsa_user_sgpr_queue_ptr 0
		.amdhsa_user_sgpr_kernarg_segment_ptr 1
		.amdhsa_user_sgpr_dispatch_id 0
		.amdhsa_user_sgpr_private_segment_size 0
		.amdhsa_wavefront_size32 1
		.amdhsa_uses_dynamic_stack 0
		.amdhsa_enable_private_segment 0
		.amdhsa_system_sgpr_workgroup_id_x 1
		.amdhsa_system_sgpr_workgroup_id_y 0
		.amdhsa_system_sgpr_workgroup_id_z 1
		.amdhsa_system_sgpr_workgroup_info 0
		.amdhsa_system_vgpr_workitem_id 0
		.amdhsa_next_free_vgpr 21
		.amdhsa_next_free_sgpr 41
		.amdhsa_reserve_vcc 1
		.amdhsa_float_round_mode_32 0
		.amdhsa_float_round_mode_16_64 0
		.amdhsa_float_denorm_mode_32 3
		.amdhsa_float_denorm_mode_16_64 3
		.amdhsa_dx10_clamp 1
		.amdhsa_ieee_mode 1
		.amdhsa_fp16_overflow 0
		.amdhsa_workgroup_processor_mode 1
		.amdhsa_memory_ordered 1
		.amdhsa_forward_progress 0
		.amdhsa_shared_vgpr_count 0
		.amdhsa_exception_fp_ieee_invalid_op 0
		.amdhsa_exception_fp_denorm_src 0
		.amdhsa_exception_fp_ieee_div_zero 0
		.amdhsa_exception_fp_ieee_overflow 0
		.amdhsa_exception_fp_ieee_underflow 0
		.amdhsa_exception_fp_ieee_inexact 0
		.amdhsa_exception_int_div_zero 0
	.end_amdhsa_kernel
	.section	.text._ZL30rocblas_trtri_remainder_kernelILi16E19rocblas_complex_numIfEPKS1_PS1_Ev13rocblas_fill_17rocblas_diagonal_iT1_lillT2_lilli,"axG",@progbits,_ZL30rocblas_trtri_remainder_kernelILi16E19rocblas_complex_numIfEPKS1_PS1_Ev13rocblas_fill_17rocblas_diagonal_iT1_lillT2_lilli,comdat
.Lfunc_end11:
	.size	_ZL30rocblas_trtri_remainder_kernelILi16E19rocblas_complex_numIfEPKS1_PS1_Ev13rocblas_fill_17rocblas_diagonal_iT1_lillT2_lilli, .Lfunc_end11-_ZL30rocblas_trtri_remainder_kernelILi16E19rocblas_complex_numIfEPKS1_PS1_Ev13rocblas_fill_17rocblas_diagonal_iT1_lillT2_lilli
                                        ; -- End function
	.section	.AMDGPU.csdata,"",@progbits
; Kernel info:
; codeLenInByte = 2804
; NumSgprs: 43
; NumVgprs: 21
; ScratchSize: 0
; MemoryBound: 0
; FloatMode: 240
; IeeeMode: 1
; LDSByteSize: 8192 bytes/workgroup (compile time only)
; SGPRBlocks: 5
; VGPRBlocks: 2
; NumSGPRsForWavesPerEU: 43
; NumVGPRsForWavesPerEU: 21
; Occupancy: 16
; WaveLimiterHint : 0
; COMPUTE_PGM_RSRC2:SCRATCH_EN: 0
; COMPUTE_PGM_RSRC2:USER_SGPR: 14
; COMPUTE_PGM_RSRC2:TRAP_HANDLER: 0
; COMPUTE_PGM_RSRC2:TGID_X_EN: 1
; COMPUTE_PGM_RSRC2:TGID_Y_EN: 0
; COMPUTE_PGM_RSRC2:TGID_Z_EN: 1
; COMPUTE_PGM_RSRC2:TIDIG_COMP_CNT: 0
	.section	.text._ZL18rocblas_trtri_fillILi128E19rocblas_complex_numIdEPS1_EvP15_rocblas_handle13rocblas_fill_ililT1_llii,"axG",@progbits,_ZL18rocblas_trtri_fillILi128E19rocblas_complex_numIdEPS1_EvP15_rocblas_handle13rocblas_fill_ililT1_llii,comdat
	.globl	_ZL18rocblas_trtri_fillILi128E19rocblas_complex_numIdEPS1_EvP15_rocblas_handle13rocblas_fill_ililT1_llii ; -- Begin function _ZL18rocblas_trtri_fillILi128E19rocblas_complex_numIdEPS1_EvP15_rocblas_handle13rocblas_fill_ililT1_llii
	.p2align	8
	.type	_ZL18rocblas_trtri_fillILi128E19rocblas_complex_numIdEPS1_EvP15_rocblas_handle13rocblas_fill_ililT1_llii,@function
_ZL18rocblas_trtri_fillILi128E19rocblas_complex_numIdEPS1_EvP15_rocblas_handle13rocblas_fill_ililT1_llii: ; @_ZL18rocblas_trtri_fillILi128E19rocblas_complex_numIdEPS1_EvP15_rocblas_handle13rocblas_fill_ililT1_llii
; %bb.0:
	s_clause 0x1
	s_load_b64 s[12:13], s[0:1], 0x10
	s_load_b32 s3, s[0:1], 0x40
	s_mov_b32 s2, s15
	s_mov_b32 s15, 0
	s_delay_alu instid0(SALU_CYCLE_1) | instskip(NEXT) | instid1(SALU_CYCLE_1)
	s_lshl_b64 s[4:5], s[14:15], 7
	v_mov_b32_e32 v5, s5
	v_or_b32_e32 v4, s4, v0
	s_waitcnt lgkmcnt(0)
	s_mul_i32 s4, s3, s13
	s_mul_hi_u32 s5, s3, s12
	s_ashr_i32 s6, s3, 31
	s_add_i32 s4, s5, s4
	s_mul_i32 s6, s6, s12
	s_mul_i32 s16, s3, s12
	s_add_i32 s17, s4, s6
	s_mov_b32 s3, exec_lo
	v_cmpx_gt_u64_e64 s[16:17], v[4:5]
	s_cbranch_execz .LBB12_16
; %bb.1:
	s_clause 0x2
	s_load_b256 s[4:11], s[0:1], 0x20
	s_load_b32 s18, s[0:1], 0x18
	s_load_b64 s[20:21], s[0:1], 0x8
	v_cvt_f32_u32_e32 v0, s12
	v_cvt_f32_u32_e32 v1, s13
	;; [unrolled: 1-line block ×3, first 2 shown]
	s_clause 0x1
	s_load_b32 s14, s[0:1], 0x48
	s_load_b32 s0, s[0:1], 0x54
	v_fmamk_f32 v0, v1, 0x4f800000, v0
	v_rcp_iflag_f32_e32 v1, v2
	s_delay_alu instid0(VALU_DEP_1)
	v_rcp_f32_e32 v0, v0
	s_waitcnt_depctr 0xfff
	v_mul_f32_e32 v1, 0x4f7ffffe, v1
	s_waitcnt lgkmcnt(0)
	s_mul_i32 s3, s2, s11
	s_mul_hi_u32 s11, s2, s10
	s_mul_i32 s2, s2, s10
	s_add_i32 s3, s11, s3
	s_ashr_i32 s19, s18, 31
	s_lshl_b64 s[2:3], s[2:3], 4
	v_mul_f32_e32 v0, 0x5f7ffffc, v0
	s_add_u32 s6, s6, s2
	s_addc_u32 s7, s7, s3
	s_lshl_b64 s[2:3], s[8:9], 4
	s_delay_alu instid0(SALU_CYCLE_1)
	s_add_u32 s6, s6, s2
	s_addc_u32 s7, s7, s3
	s_add_i32 s2, s21, -2
	v_mul_f32_e32 v2, 0x2f800000, v0
	v_cvt_f64_i32_e32 v[6:7], s2
	s_add_i32 s2, s21, -1
	s_ashr_i32 s8, s21, 31
	s_mul_hi_i32 s3, s2, s21
	v_trunc_f32_e32 v2, v2
	s_mul_i32 s2, s2, s21
	s_delay_alu instid0(SALU_CYCLE_1) | instskip(NEXT) | instid1(VALU_DEP_1)
	s_lshl_b64 s[10:11], s[2:3], 2
	v_fmamk_f32 v8, v2, 0xcf800000, v0
	v_mov_b32_e32 v0, 0
	v_cvt_u32_f32_e32 v1, v1
	s_add_u32 s1, s10, -7
	s_addc_u32 s9, s11, -1
	s_sub_i32 s10, 0, s12
	v_cvt_u32_f32_e32 v12, v8
	v_mul_lo_u32 v3, s10, v1
	v_cvt_u32_f32_e32 v13, v2
	s_and_b32 s0, s0, 0xffff
	s_mov_b32 s10, s21
	s_lshr_b64 s[2:3], s[2:3], 1
	s_mul_hi_u32 s11, s0, s14
	s_mul_i32 s14, s0, s14
	s_delay_alu instid0(VALU_DEP_2) | instskip(NEXT) | instid1(VALU_DEP_1)
	v_mul_hi_u32 v3, v1, v3
	v_add_nc_u32_e32 v14, v1, v3
	s_branch .LBB12_3
.LBB12_2:                               ;   in Loop: Header=BB12_3 Depth=1
	v_add_co_u32 v4, vcc_lo, v4, s14
	v_add_co_ci_u32_e32 v5, vcc_lo, s11, v5, vcc_lo
	s_delay_alu instid0(VALU_DEP_1) | instskip(SKIP_1) | instid1(SALU_CYCLE_1)
	v_cmp_le_u64_e32 vcc_lo, s[16:17], v[4:5]
	s_or_b32 s15, vcc_lo, s15
	s_and_not1_b32 exec_lo, exec_lo, s15
	s_cbranch_execz .LBB12_16
.LBB12_3:                               ; =>This Inner Loop Header: Depth=1
	v_or_b32_e32 v1, s13, v5
	s_delay_alu instid0(VALU_DEP_1) | instskip(SKIP_1) | instid1(SALU_CYCLE_1)
	v_cmp_ne_u64_e32 vcc_lo, 0, v[0:1]
                                        ; implicit-def: $vgpr1_vgpr2
	s_and_saveexec_b32 s0, vcc_lo
	s_xor_b32 s21, exec_lo, s0
	s_cbranch_execz .LBB12_5
; %bb.4:                                ;   in Loop: Header=BB12_3 Depth=1
	s_sub_u32 s0, 0, s12
	s_subb_u32 s22, 0, s13
	v_mul_hi_u32 v1, s0, v12
	v_mul_lo_u32 v2, s0, v13
	v_mul_lo_u32 v3, s22, v12
	s_delay_alu instid0(VALU_DEP_2) | instskip(SKIP_1) | instid1(VALU_DEP_2)
	v_add_nc_u32_e32 v1, v1, v2
	v_mul_lo_u32 v2, s0, v12
	v_add_nc_u32_e32 v1, v1, v3
	s_delay_alu instid0(VALU_DEP_2) | instskip(NEXT) | instid1(VALU_DEP_2)
	v_mul_hi_u32 v3, v12, v2
	v_mul_lo_u32 v8, v12, v1
	v_mul_hi_u32 v9, v12, v1
	v_mul_hi_u32 v10, v13, v2
	v_mul_lo_u32 v2, v13, v2
	v_mul_hi_u32 v11, v13, v1
	v_mul_lo_u32 v1, v13, v1
	v_add_co_u32 v3, vcc_lo, v3, v8
	v_add_co_ci_u32_e32 v8, vcc_lo, 0, v9, vcc_lo
	s_delay_alu instid0(VALU_DEP_2) | instskip(NEXT) | instid1(VALU_DEP_2)
	v_add_co_u32 v2, vcc_lo, v3, v2
	v_add_co_ci_u32_e32 v2, vcc_lo, v8, v10, vcc_lo
	v_add_co_ci_u32_e32 v3, vcc_lo, 0, v11, vcc_lo
	s_delay_alu instid0(VALU_DEP_2) | instskip(NEXT) | instid1(VALU_DEP_2)
	v_add_co_u32 v1, vcc_lo, v2, v1
	v_add_co_ci_u32_e32 v2, vcc_lo, 0, v3, vcc_lo
	s_delay_alu instid0(VALU_DEP_2) | instskip(NEXT) | instid1(VALU_DEP_2)
	v_add_co_u32 v1, vcc_lo, v12, v1
	v_add_co_ci_u32_e32 v2, vcc_lo, v13, v2, vcc_lo
	s_delay_alu instid0(VALU_DEP_2) | instskip(SKIP_1) | instid1(VALU_DEP_3)
	v_mul_hi_u32 v3, s0, v1
	v_mul_lo_u32 v9, s22, v1
	v_mul_lo_u32 v8, s0, v2
	s_delay_alu instid0(VALU_DEP_1) | instskip(SKIP_1) | instid1(VALU_DEP_2)
	v_add_nc_u32_e32 v3, v3, v8
	v_mul_lo_u32 v8, s0, v1
	v_add_nc_u32_e32 v3, v3, v9
	s_delay_alu instid0(VALU_DEP_2) | instskip(NEXT) | instid1(VALU_DEP_2)
	v_mul_hi_u32 v9, v1, v8
	v_mul_lo_u32 v10, v1, v3
	v_mul_hi_u32 v11, v1, v3
	v_mul_hi_u32 v15, v2, v8
	v_mul_lo_u32 v8, v2, v8
	v_mul_hi_u32 v16, v2, v3
	v_mul_lo_u32 v3, v2, v3
	v_add_co_u32 v9, vcc_lo, v9, v10
	v_add_co_ci_u32_e32 v10, vcc_lo, 0, v11, vcc_lo
	s_delay_alu instid0(VALU_DEP_2) | instskip(NEXT) | instid1(VALU_DEP_2)
	v_add_co_u32 v8, vcc_lo, v9, v8
	v_add_co_ci_u32_e32 v8, vcc_lo, v10, v15, vcc_lo
	v_add_co_ci_u32_e32 v9, vcc_lo, 0, v16, vcc_lo
	s_delay_alu instid0(VALU_DEP_2) | instskip(NEXT) | instid1(VALU_DEP_2)
	v_add_co_u32 v3, vcc_lo, v8, v3
	v_add_co_ci_u32_e32 v8, vcc_lo, 0, v9, vcc_lo
	s_delay_alu instid0(VALU_DEP_2) | instskip(NEXT) | instid1(VALU_DEP_2)
	v_add_co_u32 v3, vcc_lo, v1, v3
	v_add_co_ci_u32_e32 v15, vcc_lo, v2, v8, vcc_lo
	s_delay_alu instid0(VALU_DEP_2) | instskip(SKIP_1) | instid1(VALU_DEP_3)
	v_mul_hi_u32 v16, v4, v3
	v_mad_u64_u32 v[8:9], null, v5, v3, 0
	v_mad_u64_u32 v[1:2], null, v4, v15, 0
	;; [unrolled: 1-line block ×3, first 2 shown]
	s_delay_alu instid0(VALU_DEP_2) | instskip(NEXT) | instid1(VALU_DEP_3)
	v_add_co_u32 v1, vcc_lo, v16, v1
	v_add_co_ci_u32_e32 v2, vcc_lo, 0, v2, vcc_lo
	s_delay_alu instid0(VALU_DEP_2) | instskip(NEXT) | instid1(VALU_DEP_2)
	v_add_co_u32 v1, vcc_lo, v1, v8
	v_add_co_ci_u32_e32 v1, vcc_lo, v2, v9, vcc_lo
	v_add_co_ci_u32_e32 v2, vcc_lo, 0, v11, vcc_lo
	s_delay_alu instid0(VALU_DEP_2) | instskip(NEXT) | instid1(VALU_DEP_2)
	v_add_co_u32 v3, vcc_lo, v1, v10
	v_add_co_ci_u32_e32 v8, vcc_lo, 0, v2, vcc_lo
	s_delay_alu instid0(VALU_DEP_2) | instskip(SKIP_1) | instid1(VALU_DEP_3)
	v_mul_lo_u32 v9, s13, v3
	v_mad_u64_u32 v[1:2], null, s12, v3, 0
	v_mul_lo_u32 v10, s12, v8
	s_delay_alu instid0(VALU_DEP_2) | instskip(NEXT) | instid1(VALU_DEP_2)
	v_sub_co_u32 v1, vcc_lo, v4, v1
	v_add3_u32 v2, v2, v10, v9
	s_delay_alu instid0(VALU_DEP_1) | instskip(NEXT) | instid1(VALU_DEP_1)
	v_sub_nc_u32_e32 v9, v5, v2
	v_subrev_co_ci_u32_e64 v9, s0, s13, v9, vcc_lo
	v_add_co_u32 v10, s0, v3, 2
	s_delay_alu instid0(VALU_DEP_1) | instskip(SKIP_3) | instid1(VALU_DEP_3)
	v_add_co_ci_u32_e64 v11, s0, 0, v8, s0
	v_sub_co_u32 v15, s0, v1, s12
	v_sub_co_ci_u32_e32 v2, vcc_lo, v5, v2, vcc_lo
	v_subrev_co_ci_u32_e64 v9, s0, 0, v9, s0
	v_cmp_le_u32_e32 vcc_lo, s12, v15
	s_delay_alu instid0(VALU_DEP_3) | instskip(SKIP_1) | instid1(VALU_DEP_4)
	v_cmp_eq_u32_e64 s0, s13, v2
	v_cndmask_b32_e64 v15, 0, -1, vcc_lo
	v_cmp_le_u32_e32 vcc_lo, s13, v9
	v_cndmask_b32_e64 v16, 0, -1, vcc_lo
	v_cmp_le_u32_e32 vcc_lo, s12, v1
	;; [unrolled: 2-line block ×3, first 2 shown]
	v_cndmask_b32_e64 v17, 0, -1, vcc_lo
	v_cmp_eq_u32_e32 vcc_lo, s13, v9
	s_delay_alu instid0(VALU_DEP_2) | instskip(SKIP_3) | instid1(VALU_DEP_3)
	v_cndmask_b32_e64 v1, v17, v1, s0
	v_cndmask_b32_e32 v9, v16, v15, vcc_lo
	v_add_co_u32 v15, vcc_lo, v3, 1
	v_add_co_ci_u32_e32 v16, vcc_lo, 0, v8, vcc_lo
	v_cmp_ne_u32_e32 vcc_lo, 0, v9
	s_delay_alu instid0(VALU_DEP_2) | instskip(SKIP_1) | instid1(VALU_DEP_2)
	v_dual_cndmask_b32 v2, v16, v11 :: v_dual_cndmask_b32 v9, v15, v10
	v_cmp_ne_u32_e32 vcc_lo, 0, v1
	v_dual_cndmask_b32 v2, v8, v2 :: v_dual_cndmask_b32 v1, v3, v9
.LBB12_5:                               ;   in Loop: Header=BB12_3 Depth=1
	s_and_not1_saveexec_b32 s0, s21
; %bb.6:                                ;   in Loop: Header=BB12_3 Depth=1
	v_mul_hi_u32 v1, v4, v14
	s_delay_alu instid0(VALU_DEP_1) | instskip(NEXT) | instid1(VALU_DEP_1)
	v_mul_lo_u32 v2, v1, s12
	v_sub_nc_u32_e32 v2, v4, v2
	s_delay_alu instid0(VALU_DEP_1) | instskip(SKIP_1) | instid1(VALU_DEP_2)
	v_subrev_nc_u32_e32 v8, s12, v2
	v_cmp_le_u32_e32 vcc_lo, s12, v2
	v_dual_cndmask_b32 v2, v2, v8 :: v_dual_add_nc_u32 v3, 1, v1
	s_delay_alu instid0(VALU_DEP_1) | instskip(NEXT) | instid1(VALU_DEP_2)
	v_cndmask_b32_e32 v1, v1, v3, vcc_lo
	v_cmp_le_u32_e32 vcc_lo, s12, v2
	s_delay_alu instid0(VALU_DEP_2) | instskip(NEXT) | instid1(VALU_DEP_1)
	v_dual_mov_b32 v2, v0 :: v_dual_add_nc_u32 v3, 1, v1
	v_cndmask_b32_e32 v1, v1, v3, vcc_lo
; %bb.7:                                ;   in Loop: Header=BB12_3 Depth=1
	s_or_b32 exec_lo, exec_lo, s0
	s_delay_alu instid0(VALU_DEP_2) | instskip(NEXT) | instid1(VALU_DEP_2)
	v_mul_lo_u32 v3, v2, s12
	v_mul_lo_u32 v10, v1, s13
	v_mad_u64_u32 v[8:9], null, v1, s12, 0
	s_cmpk_lt_i32 s20, 0x7a
	s_delay_alu instid0(VALU_DEP_1) | instskip(NEXT) | instid1(VALU_DEP_2)
	v_add3_u32 v3, v9, v10, v3
	v_sub_co_u32 v8, vcc_lo, v4, v8
	s_delay_alu instid0(VALU_DEP_2)
	v_sub_co_ci_u32_e32 v9, vcc_lo, v5, v3, vcc_lo
	s_cbranch_scc1 .LBB12_10
; %bb.8:                                ;   in Loop: Header=BB12_3 Depth=1
	s_mov_b32 s0, 0
	s_cmpk_eq_i32 s20, 0x7a
	s_mov_b32 s21, 0
                                        ; implicit-def: $vgpr10_vgpr11
	s_cbranch_scc0 .LBB12_11
; %bb.9:                                ;   in Loop: Header=BB12_3 Depth=1
	v_lshlrev_b64 v[10:11], 3, v[8:9]
	s_mov_b32 s21, -1
	s_delay_alu instid0(VALU_DEP_1) | instskip(NEXT) | instid1(VALU_DEP_2)
	v_sub_co_u32 v3, vcc_lo, s1, v10
	v_sub_co_ci_u32_e32 v10, vcc_lo, s9, v11, vcc_lo
	s_delay_alu instid0(VALU_DEP_2) | instskip(NEXT) | instid1(VALU_DEP_2)
	v_cvt_f64_u32_e32 v[15:16], v3
	v_cvt_f64_u32_e32 v[10:11], v10
	s_delay_alu instid0(VALU_DEP_1) | instskip(NEXT) | instid1(VALU_DEP_1)
	v_ldexp_f64 v[10:11], v[10:11], 32
	v_add_f64 v[10:11], v[10:11], v[15:16]
	s_delay_alu instid0(VALU_DEP_1) | instskip(SKIP_1) | instid1(VALU_DEP_1)
	v_cmp_gt_f64_e32 vcc_lo, 0x10000000, v[10:11]
	v_cndmask_b32_e64 v3, 0, 1, vcc_lo
	v_lshlrev_b32_e32 v3, 8, v3
	s_delay_alu instid0(VALU_DEP_1) | instskip(SKIP_1) | instid1(VALU_DEP_2)
	v_ldexp_f64 v[10:11], v[10:11], v3
	v_cndmask_b32_e64 v3, 0, 0xffffff80, vcc_lo
	v_rsq_f64_e32 v[15:16], v[10:11]
	v_cmp_class_f64_e64 vcc_lo, v[10:11], 0x260
	s_waitcnt_depctr 0xfff
	v_mul_f64 v[17:18], v[10:11], v[15:16]
	v_mul_f64 v[15:16], v[15:16], 0.5
	s_delay_alu instid0(VALU_DEP_1) | instskip(NEXT) | instid1(VALU_DEP_1)
	v_fma_f64 v[19:20], -v[15:16], v[17:18], 0.5
	v_fma_f64 v[17:18], v[17:18], v[19:20], v[17:18]
	v_fma_f64 v[15:16], v[15:16], v[19:20], v[15:16]
	s_delay_alu instid0(VALU_DEP_2) | instskip(NEXT) | instid1(VALU_DEP_1)
	v_fma_f64 v[19:20], -v[17:18], v[17:18], v[10:11]
	v_fma_f64 v[17:18], v[19:20], v[15:16], v[17:18]
	s_delay_alu instid0(VALU_DEP_1) | instskip(NEXT) | instid1(VALU_DEP_1)
	v_fma_f64 v[19:20], -v[17:18], v[17:18], v[10:11]
	v_fma_f64 v[15:16], v[19:20], v[15:16], v[17:18]
	v_mul_lo_u32 v17, v1, s5
	s_delay_alu instid0(VALU_DEP_2) | instskip(SKIP_1) | instid1(VALU_DEP_2)
	v_ldexp_f64 v[15:16], v[15:16], v3
	v_mul_lo_u32 v3, v2, s4
	v_dual_cndmask_b32 v10, v15, v10 :: v_dual_cndmask_b32 v11, v16, v11
	s_delay_alu instid0(VALU_DEP_1) | instskip(NEXT) | instid1(VALU_DEP_1)
	v_fma_f64 v[10:11], v[10:11], 0.5, -0.5
	v_floor_f64_e32 v[10:11], v[10:11]
	s_delay_alu instid0(VALU_DEP_1) | instskip(NEXT) | instid1(VALU_DEP_1)
	v_add_f64 v[10:11], v[6:7], -v[10:11]
	v_trunc_f64_e32 v[10:11], v[10:11]
	s_delay_alu instid0(VALU_DEP_1) | instskip(NEXT) | instid1(VALU_DEP_1)
	v_ldexp_f64 v[15:16], v[10:11], 0xffffffe0
	v_floor_f64_e32 v[15:16], v[15:16]
	s_delay_alu instid0(VALU_DEP_1) | instskip(SKIP_1) | instid1(VALU_DEP_2)
	v_fma_f64 v[10:11], 0xc1f00000, v[15:16], v[10:11]
	v_cvt_u32_f64_e32 v16, v[15:16]
	v_cvt_u32_f64_e32 v15, v[10:11]
	v_mad_u64_u32 v[10:11], null, v1, s4, 0
	s_delay_alu instid0(VALU_DEP_1) | instskip(NEXT) | instid1(VALU_DEP_4)
	v_add3_u32 v11, v11, v17, v3
	v_mul_lo_u32 v3, v16, s18
	s_delay_alu instid0(VALU_DEP_2) | instskip(SKIP_4) | instid1(VALU_DEP_4)
	v_lshlrev_b64 v[10:11], 4, v[10:11]
	v_sub_co_u32 v23, vcc_lo, s10, v15
	v_sub_co_ci_u32_e32 v21, vcc_lo, s8, v16, vcc_lo
	v_mul_lo_u32 v22, v15, s19
	v_mad_u64_u32 v[17:18], null, v15, s18, 0
	v_add_co_u32 v24, vcc_lo, v23, -1
	s_delay_alu instid0(VALU_DEP_4) | instskip(SKIP_1) | instid1(VALU_DEP_4)
	v_add_co_ci_u32_e32 v25, vcc_lo, -1, v21, vcc_lo
	v_sub_co_u32 v19, vcc_lo, v8, s2
	v_add3_u32 v18, v18, v22, v3
	s_delay_alu instid0(VALU_DEP_3)
	v_mul_lo_u32 v3, v25, v23
	v_mul_lo_u32 v25, v24, v21
	v_mad_u64_u32 v[21:22], null, v24, v23, 0
	v_subrev_co_ci_u32_e32 v20, vcc_lo, s3, v9, vcc_lo
	v_lshlrev_b64 v[17:18], 4, v[17:18]
	v_add_co_u32 v10, vcc_lo, s6, v10
	v_add_co_ci_u32_e32 v11, vcc_lo, s7, v11, vcc_lo
	s_delay_alu instid0(VALU_DEP_4) | instskip(SKIP_1) | instid1(VALU_DEP_4)
	v_lshlrev_b64 v[19:20], 4, v[19:20]
	v_add3_u32 v22, v22, v25, v3
	v_add_co_u32 v3, vcc_lo, v10, v17
	s_delay_alu instid0(VALU_DEP_4) | instskip(NEXT) | instid1(VALU_DEP_3)
	v_add_co_ci_u32_e32 v17, vcc_lo, v11, v18, vcc_lo
	v_lshlrev_b64 v[10:11], 3, v[21:22]
	v_lshlrev_b64 v[15:16], 4, v[15:16]
	s_delay_alu instid0(VALU_DEP_4) | instskip(NEXT) | instid1(VALU_DEP_4)
	v_add_co_u32 v3, vcc_lo, v3, v19
	v_add_co_ci_u32_e32 v17, vcc_lo, v17, v20, vcc_lo
	s_delay_alu instid0(VALU_DEP_4) | instskip(NEXT) | instid1(VALU_DEP_3)
	v_and_b32_e32 v10, -16, v10
	v_add_co_u32 v3, vcc_lo, v3, v15
	s_delay_alu instid0(VALU_DEP_3) | instskip(NEXT) | instid1(VALU_DEP_2)
	v_add_co_ci_u32_e32 v15, vcc_lo, v17, v16, vcc_lo
	v_add_co_u32 v3, vcc_lo, v3, v10
	s_delay_alu instid0(VALU_DEP_2) | instskip(NEXT) | instid1(VALU_DEP_2)
	v_add_co_ci_u32_e32 v11, vcc_lo, v15, v11, vcc_lo
	v_add_co_u32 v10, vcc_lo, v3, 16
	s_delay_alu instid0(VALU_DEP_2)
	v_add_co_ci_u32_e32 v11, vcc_lo, 0, v11, vcc_lo
	s_branch .LBB12_11
.LBB12_10:                              ;   in Loop: Header=BB12_3 Depth=1
	s_mov_b32 s0, -1
	s_mov_b32 s21, 0
                                        ; implicit-def: $vgpr10_vgpr11
.LBB12_11:                              ;   in Loop: Header=BB12_3 Depth=1
	s_and_b32 vcc_lo, exec_lo, s0
	s_cbranch_vccz .LBB12_14
; %bb.12:                               ;   in Loop: Header=BB12_3 Depth=1
	s_cmpk_eq_i32 s20, 0x79
                                        ; implicit-def: $vgpr10_vgpr11
	s_cbranch_scc0 .LBB12_14
; %bb.13:                               ;   in Loop: Header=BB12_3 Depth=1
	v_lshlrev_b64 v[10:11], 3, v[8:9]
	s_mov_b32 s21, -1
	s_delay_alu instid0(VALU_DEP_1) | instskip(NEXT) | instid1(VALU_DEP_2)
	v_cvt_f64_u32_e32 v[15:16], v11
	v_or_b32_e32 v3, 1, v10
	s_delay_alu instid0(VALU_DEP_1) | instskip(NEXT) | instid1(VALU_DEP_3)
	v_cvt_f64_u32_e32 v[10:11], v3
	v_ldexp_f64 v[15:16], v[15:16], 32
	s_delay_alu instid0(VALU_DEP_1) | instskip(NEXT) | instid1(VALU_DEP_1)
	v_add_f64 v[10:11], v[15:16], v[10:11]
	v_cmp_gt_f64_e32 vcc_lo, 0x10000000, v[10:11]
	v_cndmask_b32_e64 v3, 0, 1, vcc_lo
	s_delay_alu instid0(VALU_DEP_1) | instskip(NEXT) | instid1(VALU_DEP_1)
	v_lshlrev_b32_e32 v3, 8, v3
	v_ldexp_f64 v[10:11], v[10:11], v3
	v_cndmask_b32_e64 v3, 0, 0xffffff80, vcc_lo
	s_delay_alu instid0(VALU_DEP_2) | instskip(SKIP_4) | instid1(VALU_DEP_1)
	v_rsq_f64_e32 v[15:16], v[10:11]
	v_cmp_class_f64_e64 vcc_lo, v[10:11], 0x260
	s_waitcnt_depctr 0xfff
	v_mul_f64 v[17:18], v[10:11], v[15:16]
	v_mul_f64 v[15:16], v[15:16], 0.5
	v_fma_f64 v[19:20], -v[15:16], v[17:18], 0.5
	s_delay_alu instid0(VALU_DEP_1) | instskip(SKIP_1) | instid1(VALU_DEP_2)
	v_fma_f64 v[17:18], v[17:18], v[19:20], v[17:18]
	v_fma_f64 v[15:16], v[15:16], v[19:20], v[15:16]
	v_fma_f64 v[19:20], -v[17:18], v[17:18], v[10:11]
	s_delay_alu instid0(VALU_DEP_1) | instskip(NEXT) | instid1(VALU_DEP_1)
	v_fma_f64 v[17:18], v[19:20], v[15:16], v[17:18]
	v_fma_f64 v[19:20], -v[17:18], v[17:18], v[10:11]
	s_delay_alu instid0(VALU_DEP_1) | instskip(SKIP_2) | instid1(VALU_DEP_3)
	v_fma_f64 v[15:16], v[19:20], v[15:16], v[17:18]
	v_mul_lo_u32 v18, v2, s4
	v_mul_lo_u32 v19, v1, s5
	v_ldexp_f64 v[15:16], v[15:16], v3
	v_mad_u64_u32 v[2:3], null, v1, s4, 0
	s_delay_alu instid0(VALU_DEP_1) | instskip(NEXT) | instid1(VALU_DEP_3)
	v_add3_u32 v3, v3, v19, v18
	v_dual_cndmask_b32 v10, v15, v10 :: v_dual_cndmask_b32 v11, v16, v11
	s_delay_alu instid0(VALU_DEP_1) | instskip(NEXT) | instid1(VALU_DEP_1)
	v_add_f64 v[10:11], v[10:11], -1.0
	v_mul_f64 v[10:11], v[10:11], 0.5
	s_delay_alu instid0(VALU_DEP_1) | instskip(NEXT) | instid1(VALU_DEP_1)
	v_trunc_f64_e32 v[10:11], v[10:11]
	v_ldexp_f64 v[15:16], v[10:11], 0xffffffe0
	s_delay_alu instid0(VALU_DEP_1) | instskip(NEXT) | instid1(VALU_DEP_1)
	v_floor_f64_e32 v[15:16], v[15:16]
	v_fma_f64 v[10:11], 0xc1f00000, v[15:16], v[10:11]
	v_cvt_u32_f64_e32 v16, v[15:16]
	s_delay_alu instid0(VALU_DEP_2) | instskip(NEXT) | instid1(VALU_DEP_2)
	v_cvt_u32_f64_e32 v15, v[10:11]
	v_mul_lo_u32 v20, s18, v16
	s_delay_alu instid0(VALU_DEP_2) | instskip(SKIP_3) | instid1(VALU_DEP_3)
	v_mad_u64_u32 v[10:11], null, v15, v15, v[15:16]
	v_mul_lo_u32 v1, v15, v16
	v_mul_lo_u32 v21, s19, v15
	v_mad_u64_u32 v[16:17], null, s18, v15, s[18:19]
	v_add3_u32 v11, v1, v11, v1
	v_lshlrev_b64 v[1:2], 4, v[2:3]
	s_delay_alu instid0(VALU_DEP_3) | instskip(NEXT) | instid1(VALU_DEP_3)
	v_add3_u32 v17, v21, v17, v20
	v_lshrrev_b64 v[10:11], 1, v[10:11]
	s_delay_alu instid0(VALU_DEP_2) | instskip(NEXT) | instid1(VALU_DEP_2)
	v_lshlrev_b64 v[15:16], 4, v[16:17]
	v_sub_co_u32 v8, vcc_lo, v8, v10
	s_delay_alu instid0(VALU_DEP_3) | instskip(SKIP_2) | instid1(VALU_DEP_3)
	v_sub_co_ci_u32_e32 v9, vcc_lo, v9, v11, vcc_lo
	v_add_co_u32 v3, vcc_lo, s6, v1
	v_add_co_ci_u32_e32 v10, vcc_lo, s7, v2, vcc_lo
	v_lshlrev_b64 v[1:2], 4, v[8:9]
	s_delay_alu instid0(VALU_DEP_3) | instskip(NEXT) | instid1(VALU_DEP_3)
	v_add_co_u32 v3, vcc_lo, v3, v15
	v_add_co_ci_u32_e32 v8, vcc_lo, v10, v16, vcc_lo
	s_delay_alu instid0(VALU_DEP_2) | instskip(NEXT) | instid1(VALU_DEP_2)
	v_add_co_u32 v10, vcc_lo, v3, v1
	v_add_co_ci_u32_e32 v11, vcc_lo, v8, v2, vcc_lo
.LBB12_14:                              ;   in Loop: Header=BB12_3 Depth=1
	s_and_b32 vcc_lo, exec_lo, s21
	s_cbranch_vccz .LBB12_2
; %bb.15:                               ;   in Loop: Header=BB12_3 Depth=1
	v_mov_b32_e32 v1, v0
	v_mov_b32_e32 v2, v0
	;; [unrolled: 1-line block ×3, first 2 shown]
	global_store_b128 v[10:11], v[0:3], off
	s_branch .LBB12_2
.LBB12_16:
	s_nop 0
	s_sendmsg sendmsg(MSG_DEALLOC_VGPRS)
	s_endpgm
	.section	.rodata,"a",@progbits
	.p2align	6, 0x0
	.amdhsa_kernel _ZL18rocblas_trtri_fillILi128E19rocblas_complex_numIdEPS1_EvP15_rocblas_handle13rocblas_fill_ililT1_llii
		.amdhsa_group_segment_fixed_size 0
		.amdhsa_private_segment_fixed_size 0
		.amdhsa_kernarg_size 328
		.amdhsa_user_sgpr_count 14
		.amdhsa_user_sgpr_dispatch_ptr 0
		.amdhsa_user_sgpr_queue_ptr 0
		.amdhsa_user_sgpr_kernarg_segment_ptr 1
		.amdhsa_user_sgpr_dispatch_id 0
		.amdhsa_user_sgpr_private_segment_size 0
		.amdhsa_wavefront_size32 1
		.amdhsa_uses_dynamic_stack 0
		.amdhsa_enable_private_segment 0
		.amdhsa_system_sgpr_workgroup_id_x 1
		.amdhsa_system_sgpr_workgroup_id_y 0
		.amdhsa_system_sgpr_workgroup_id_z 1
		.amdhsa_system_sgpr_workgroup_info 0
		.amdhsa_system_vgpr_workitem_id 0
		.amdhsa_next_free_vgpr 26
		.amdhsa_next_free_sgpr 23
		.amdhsa_reserve_vcc 1
		.amdhsa_float_round_mode_32 0
		.amdhsa_float_round_mode_16_64 0
		.amdhsa_float_denorm_mode_32 3
		.amdhsa_float_denorm_mode_16_64 3
		.amdhsa_dx10_clamp 1
		.amdhsa_ieee_mode 1
		.amdhsa_fp16_overflow 0
		.amdhsa_workgroup_processor_mode 1
		.amdhsa_memory_ordered 1
		.amdhsa_forward_progress 0
		.amdhsa_shared_vgpr_count 0
		.amdhsa_exception_fp_ieee_invalid_op 0
		.amdhsa_exception_fp_denorm_src 0
		.amdhsa_exception_fp_ieee_div_zero 0
		.amdhsa_exception_fp_ieee_overflow 0
		.amdhsa_exception_fp_ieee_underflow 0
		.amdhsa_exception_fp_ieee_inexact 0
		.amdhsa_exception_int_div_zero 0
	.end_amdhsa_kernel
	.section	.text._ZL18rocblas_trtri_fillILi128E19rocblas_complex_numIdEPS1_EvP15_rocblas_handle13rocblas_fill_ililT1_llii,"axG",@progbits,_ZL18rocblas_trtri_fillILi128E19rocblas_complex_numIdEPS1_EvP15_rocblas_handle13rocblas_fill_ililT1_llii,comdat
.Lfunc_end12:
	.size	_ZL18rocblas_trtri_fillILi128E19rocblas_complex_numIdEPS1_EvP15_rocblas_handle13rocblas_fill_ililT1_llii, .Lfunc_end12-_ZL18rocblas_trtri_fillILi128E19rocblas_complex_numIdEPS1_EvP15_rocblas_handle13rocblas_fill_ililT1_llii
                                        ; -- End function
	.section	.AMDGPU.csdata,"",@progbits
; Kernel info:
; codeLenInByte = 2412
; NumSgprs: 25
; NumVgprs: 26
; ScratchSize: 0
; MemoryBound: 0
; FloatMode: 240
; IeeeMode: 1
; LDSByteSize: 0 bytes/workgroup (compile time only)
; SGPRBlocks: 3
; VGPRBlocks: 3
; NumSGPRsForWavesPerEU: 25
; NumVGPRsForWavesPerEU: 26
; Occupancy: 16
; WaveLimiterHint : 0
; COMPUTE_PGM_RSRC2:SCRATCH_EN: 0
; COMPUTE_PGM_RSRC2:USER_SGPR: 14
; COMPUTE_PGM_RSRC2:TRAP_HANDLER: 0
; COMPUTE_PGM_RSRC2:TGID_X_EN: 1
; COMPUTE_PGM_RSRC2:TGID_Y_EN: 0
; COMPUTE_PGM_RSRC2:TGID_Z_EN: 1
; COMPUTE_PGM_RSRC2:TIDIG_COMP_CNT: 0
	.section	.text._ZL26rocblas_trtri_small_kernelILi16E19rocblas_complex_numIdEPKS1_PS1_Ev13rocblas_fill_17rocblas_diagonal_iT1_lillT2_lilli,"axG",@progbits,_ZL26rocblas_trtri_small_kernelILi16E19rocblas_complex_numIdEPKS1_PS1_Ev13rocblas_fill_17rocblas_diagonal_iT1_lillT2_lilli,comdat
	.globl	_ZL26rocblas_trtri_small_kernelILi16E19rocblas_complex_numIdEPKS1_PS1_Ev13rocblas_fill_17rocblas_diagonal_iT1_lillT2_lilli ; -- Begin function _ZL26rocblas_trtri_small_kernelILi16E19rocblas_complex_numIdEPKS1_PS1_Ev13rocblas_fill_17rocblas_diagonal_iT1_lillT2_lilli
	.p2align	8
	.type	_ZL26rocblas_trtri_small_kernelILi16E19rocblas_complex_numIdEPKS1_PS1_Ev13rocblas_fill_17rocblas_diagonal_iT1_lillT2_lilli,@function
_ZL26rocblas_trtri_small_kernelILi16E19rocblas_complex_numIdEPKS1_PS1_Ev13rocblas_fill_17rocblas_diagonal_iT1_lillT2_lilli: ; @_ZL26rocblas_trtri_small_kernelILi16E19rocblas_complex_numIdEPKS1_PS1_Ev13rocblas_fill_17rocblas_diagonal_iT1_lillT2_lilli
; %bb.0:
	s_load_b128 s[16:19], s[0:1], 0x0
	s_waitcnt lgkmcnt(0)
	s_cmp_lt_i32 s18, 1
	s_cbranch_scc1 .LBB13_51
; %bb.1:
	s_load_b256 s[4:11], s[0:1], 0x28
	v_cmp_le_u32_e64 s3, s18, v0
	v_cmp_gt_u32_e64 s2, s18, v0
	s_delay_alu instid0(VALU_DEP_1)
	s_and_saveexec_b32 s19, s2
	s_cbranch_execz .LBB13_14
; %bb.2:
	s_clause 0x1
	s_load_b128 s[20:23], s[0:1], 0x10
	s_load_b32 s12, s[0:1], 0x20
	s_waitcnt lgkmcnt(0)
	s_mul_i32 s5, s15, s5
	s_mul_hi_u32 s13, s15, s4
	s_mul_i32 s24, s15, s4
	s_add_i32 s25, s13, s5
	s_mul_i32 s5, s14, s7
	s_mul_hi_u32 s7, s14, s6
	s_mul_i32 s6, s14, s6
	s_add_i32 s7, s7, s5
	s_cmpk_lg_i32 s16, 0x7a
	s_mov_b32 s4, -1
	s_cbranch_scc0 .LBB13_6
; %bb.3:
	s_ashr_i32 s13, s12, 31
	s_lshl_b32 s5, s18, 4
	s_ashr_i32 s4, s18, 31
	s_add_u32 s26, s18, -1
	s_addc_u32 s4, s4, -1
	s_mul_i32 s27, s26, s13
	s_mul_hi_u32 s28, s26, s12
	s_mul_i32 s4, s4, s12
	s_add_i32 s27, s28, s27
	s_mul_i32 s26, s26, s12
	s_add_i32 s27, s27, s4
	s_lshl_b64 s[28:29], s[6:7], 4
	s_lshl_b64 s[26:27], s[26:27], 4
	v_lshlrev_b32_e32 v1, 4, v0
	s_add_u32 s4, s26, s28
	s_addc_u32 s28, s27, s29
	s_lshl_b64 s[26:27], s[24:25], 4
	s_delay_alu instid0(SALU_CYCLE_1)
	s_add_u32 s4, s4, s26
	s_addc_u32 s28, s28, s27
	s_lshl_b64 s[26:27], s[22:23], 4
	v_sub_nc_u32_e32 v2, s5, v1
	s_add_u32 s4, s4, s26
	s_addc_u32 s26, s28, s27
	s_add_u32 s4, s20, s4
	s_addc_u32 s28, s21, s26
	v_add_co_u32 v1, s4, s4, v1
	v_add_nc_u32_e32 v3, -16, v2
	s_lshl_b64 s[26:27], s[12:13], 4
	v_add_co_ci_u32_e64 v2, null, s28, 0, s4
	s_sub_u32 s13, 0, s26
	s_subb_u32 s27, 0, s27
	s_mov_b32 s26, 0
	s_mov_b32 s28, s18
.LBB13_4:                               ; =>This Inner Loop Header: Depth=1
	global_load_b128 v[4:7], v[1:2], off
	s_add_i32 s28, s28, -1
	v_add_co_u32 v1, vcc_lo, v1, s13
	v_cmp_le_i32_e64 s4, s28, v0
	v_add_co_ci_u32_e32 v2, vcc_lo, s27, v2, vcc_lo
	s_delay_alu instid0(VALU_DEP_2)
	s_or_b32 s26, s4, s26
	s_waitcnt vmcnt(0)
	ds_store_2addr_b64 v3, v[4:5], v[6:7] offset1:1
	v_add_nc_u32_e32 v3, s5, v3
	s_and_not1_b32 exec_lo, exec_lo, s26
	s_cbranch_execnz .LBB13_4
; %bb.5:
	s_or_b32 exec_lo, exec_lo, s26
	s_mov_b32 s4, 0
.LBB13_6:
	s_delay_alu instid0(SALU_CYCLE_1)
	s_and_b32 vcc_lo, exec_lo, s4
	s_cbranch_vccz .LBB13_14
; %bb.7:
	v_dual_mov_b32 v3, 0 :: v_dual_add_nc_u32 v4, 1, v0
	s_ashr_i32 s13, s12, 31
	s_mov_b32 s5, exec_lo
	v_cmpx_lt_u32_e32 2, v0
	s_cbranch_execz .LBB13_11
; %bb.8:
	s_lshl_b64 s[26:27], s[24:25], 4
	v_lshlrev_b32_e32 v5, 4, v0
	s_add_u32 s4, s20, s26
	s_addc_u32 s28, s21, s27
	s_lshl_b64 s[26:27], s[22:23], 4
	v_and_b32_e32 v3, 28, v4
	s_add_u32 s4, s4, s26
	s_addc_u32 s28, s28, s27
	s_lshl_b64 s[26:27], s[6:7], 4
	s_mul_hi_i32 s33, s12, 48
	s_add_u32 s4, s4, s26
	s_addc_u32 s26, s28, s27
	v_add_co_u32 v1, s4, s4, v5
	s_delay_alu instid0(VALU_DEP_1)
	v_add_co_ci_u32_e64 v2, null, s26, 0, s4
	s_mul_i32 s34, s12, 48
	s_lshl_b64 s[26:27], s[12:13], 6
	s_lshl_b64 s[28:29], s[12:13], 5
	;; [unrolled: 1-line block ×3, first 2 shown]
	s_lshl_b32 s35, s18, 4
	s_lshl_b32 s36, s18, 6
	;; [unrolled: 1-line block ×3, first 2 shown]
	s_mul_i32 s39, s18, 48
	s_mov_b32 s38, 0
	s_mov_b32 s40, 0
	s_set_inst_prefetch_distance 0x1
	.p2align	6
.LBB13_9:                               ; =>This Inner Loop Header: Depth=1
	v_add_co_u32 v10, vcc_lo, v1, s30
	v_add_co_ci_u32_e32 v11, vcc_lo, s31, v2, vcc_lo
	v_add_co_u32 v14, vcc_lo, v1, s28
	v_add_co_ci_u32_e32 v15, vcc_lo, s29, v2, vcc_lo
	;; [unrolled: 2-line block ×3, first 2 shown]
	s_clause 0x3
	global_load_b128 v[6:9], v[1:2], off
	global_load_b128 v[10:13], v[10:11], off
	global_load_b128 v[14:17], v[14:15], off
	global_load_b128 v[18:21], v[18:19], off
	s_add_i32 s40, s40, 4
	v_add_co_u32 v1, s4, v1, s26
	v_cmp_eq_u32_e32 vcc_lo, s40, v3
	v_add_nc_u32_e32 v22, s35, v5
	v_add_nc_u32_e32 v23, s37, v5
	;; [unrolled: 1-line block ×3, first 2 shown]
	v_add_co_ci_u32_e64 v2, s4, s27, v2, s4
	s_or_b32 s38, vcc_lo, s38
	s_waitcnt vmcnt(3)
	ds_store_2addr_b64 v5, v[6:7], v[8:9] offset1:1
	v_add_nc_u32_e32 v5, s36, v5
	s_waitcnt vmcnt(2)
	ds_store_2addr_b64 v22, v[10:11], v[12:13] offset1:1
	s_waitcnt vmcnt(1)
	ds_store_2addr_b64 v23, v[14:15], v[16:17] offset1:1
	;; [unrolled: 2-line block ×3, first 2 shown]
	s_and_not1_b32 exec_lo, exec_lo, s38
	s_cbranch_execnz .LBB13_9
; %bb.10:
	s_set_inst_prefetch_distance 0x2
	s_or_b32 exec_lo, exec_lo, s38
.LBB13_11:
	s_delay_alu instid0(SALU_CYCLE_1) | instskip(SKIP_2) | instid1(VALU_DEP_1)
	s_or_b32 exec_lo, exec_lo, s5
	v_and_b32_e32 v4, 3, v4
	s_mov_b32 s5, 0
	v_cmp_ne_u32_e32 vcc_lo, 0, v4
	s_and_b32 exec_lo, exec_lo, vcc_lo
	s_cbranch_execz .LBB13_14
; %bb.12:
	v_mad_i64_i32 v[1:2], null, s12, v3, 0
	s_lshl_b64 s[6:7], s[6:7], 4
	s_lshl_b64 s[26:27], s[24:25], 4
	s_lshl_b32 s24, s18, 4
	s_add_u32 s4, s6, s26
	s_addc_u32 s25, s7, s27
	s_lshl_b64 s[6:7], s[22:23], 4
	s_delay_alu instid0(VALU_DEP_1) | instskip(SKIP_4) | instid1(VALU_DEP_3)
	v_lshlrev_b64 v[1:2], 4, v[1:2]
	s_add_u32 s4, s6, s4
	v_lshlrev_b32_e32 v5, 4, v0
	s_addc_u32 s6, s7, s25
	v_mul_lo_u32 v3, v3, s18
	v_add_co_u32 v1, vcc_lo, s4, v1
	v_add_co_ci_u32_e32 v2, vcc_lo, s6, v2, vcc_lo
	s_lshl_b64 s[6:7], s[12:13], 4
	s_delay_alu instid0(VALU_DEP_2) | instskip(NEXT) | instid1(VALU_DEP_2)
	v_add_co_u32 v1, vcc_lo, v1, v5
	v_add_co_ci_u32_e32 v2, vcc_lo, 0, v2, vcc_lo
	v_add_lshl_u32 v3, v0, v3, 4
	s_delay_alu instid0(VALU_DEP_3) | instskip(NEXT) | instid1(VALU_DEP_3)
	v_add_co_u32 v1, vcc_lo, s20, v1
	v_add_co_ci_u32_e32 v2, vcc_lo, s21, v2, vcc_lo
.LBB13_13:                              ; =>This Inner Loop Header: Depth=1
	global_load_b128 v[5:8], v[1:2], off
	v_add_nc_u32_e32 v4, -1, v4
	v_add_co_u32 v1, vcc_lo, v1, s6
	v_add_co_ci_u32_e32 v2, vcc_lo, s7, v2, vcc_lo
	s_delay_alu instid0(VALU_DEP_3) | instskip(NEXT) | instid1(VALU_DEP_1)
	v_cmp_eq_u32_e64 s4, 0, v4
	s_or_b32 s5, s4, s5
	s_waitcnt vmcnt(0)
	ds_store_2addr_b64 v3, v[5:6], v[7:8] offset1:1
	v_add_nc_u32_e32 v3, s24, v3
	s_and_not1_b32 exec_lo, exec_lo, s5
	s_cbranch_execnz .LBB13_13
.LBB13_14:
	s_or_b32 exec_lo, exec_lo, s19
	s_waitcnt vmcnt(0) lgkmcnt(0)
	s_waitcnt_vscnt null, 0x0
	; wave barrier
	s_waitcnt lgkmcnt(0)
	buffer_gl0_inv
                                        ; implicit-def: $vgpr9
	s_and_saveexec_b32 s4, s3
	s_delay_alu instid0(SALU_CYCLE_1)
	s_xor_b32 s3, exec_lo, s4
; %bb.15:
	v_mad_u64_u32 v[9:10], null, v0, s18, v[0:1]
; %bb.16:
	s_and_not1_saveexec_b32 s4, s3
	s_cbranch_execz .LBB13_27
; %bb.17:
	v_mad_u64_u32 v[9:10], null, v0, s18, v[0:1]
	s_cmpk_eq_i32 s17, 0x84
	s_delay_alu instid0(VALU_DEP_1)
	v_lshlrev_b32_e32 v10, 4, v9
	s_cbranch_scc1 .LBB13_25
; %bb.18:
	ds_load_b128 v[1:4], v10
	v_mov_b32_e32 v7, 0
	v_dual_mov_b32 v8, 0 :: v_dual_mov_b32 v5, 0
	v_mov_b32_e32 v6, 0x3ff00000
	s_waitcnt lgkmcnt(0)
	v_cmp_neq_f64_e32 vcc_lo, 0, v[1:2]
	v_cmp_neq_f64_e64 s3, 0, v[3:4]
	s_delay_alu instid0(VALU_DEP_1) | instskip(NEXT) | instid1(SALU_CYCLE_1)
	s_or_b32 s3, vcc_lo, s3
	s_and_saveexec_b32 s5, s3
	s_cbranch_execz .LBB13_24
; %bb.19:
	v_cmp_gt_f64_e32 vcc_lo, 0, v[1:2]
	v_cmp_gt_f64_e64 s3, 0, v[3:4]
	v_xor_b32_e32 v5, 0x80000000, v2
	v_xor_b32_e32 v7, 0x80000000, v4
	s_delay_alu instid0(VALU_DEP_2) | instskip(NEXT) | instid1(VALU_DEP_2)
	v_cndmask_b32_e32 v6, v2, v5, vcc_lo
	v_cndmask_b32_e64 v8, v4, v7, s3
	v_cndmask_b32_e32 v5, v1, v1, vcc_lo
	v_cndmask_b32_e64 v7, v3, v3, s3
	s_delay_alu instid0(VALU_DEP_1) | instskip(SKIP_1) | instid1(SALU_CYCLE_1)
	v_cmp_ngt_f64_e32 vcc_lo, v[5:6], v[7:8]
                                        ; implicit-def: $vgpr7_vgpr8
	s_and_saveexec_b32 s3, vcc_lo
	s_xor_b32 s3, exec_lo, s3
	s_cbranch_execz .LBB13_21
; %bb.20:
	v_div_scale_f64 v[5:6], null, v[3:4], v[3:4], v[1:2]
	v_div_scale_f64 v[13:14], vcc_lo, v[1:2], v[3:4], v[1:2]
	s_delay_alu instid0(VALU_DEP_2) | instskip(SKIP_2) | instid1(VALU_DEP_1)
	v_rcp_f64_e32 v[7:8], v[5:6]
	s_waitcnt_depctr 0xfff
	v_fma_f64 v[11:12], -v[5:6], v[7:8], 1.0
	v_fma_f64 v[7:8], v[7:8], v[11:12], v[7:8]
	s_delay_alu instid0(VALU_DEP_1) | instskip(NEXT) | instid1(VALU_DEP_1)
	v_fma_f64 v[11:12], -v[5:6], v[7:8], 1.0
	v_fma_f64 v[7:8], v[7:8], v[11:12], v[7:8]
	s_delay_alu instid0(VALU_DEP_1) | instskip(NEXT) | instid1(VALU_DEP_1)
	v_mul_f64 v[11:12], v[13:14], v[7:8]
	v_fma_f64 v[5:6], -v[5:6], v[11:12], v[13:14]
	s_delay_alu instid0(VALU_DEP_1) | instskip(NEXT) | instid1(VALU_DEP_1)
	v_div_fmas_f64 v[5:6], v[5:6], v[7:8], v[11:12]
	v_div_fixup_f64 v[5:6], v[5:6], v[3:4], v[1:2]
	s_delay_alu instid0(VALU_DEP_1) | instskip(NEXT) | instid1(VALU_DEP_1)
	v_fma_f64 v[1:2], v[1:2], v[5:6], v[3:4]
	v_div_scale_f64 v[3:4], null, v[1:2], v[1:2], 1.0
	s_delay_alu instid0(VALU_DEP_1) | instskip(SKIP_2) | instid1(VALU_DEP_1)
	v_rcp_f64_e32 v[7:8], v[3:4]
	s_waitcnt_depctr 0xfff
	v_fma_f64 v[11:12], -v[3:4], v[7:8], 1.0
	v_fma_f64 v[7:8], v[7:8], v[11:12], v[7:8]
	s_delay_alu instid0(VALU_DEP_1) | instskip(NEXT) | instid1(VALU_DEP_1)
	v_fma_f64 v[11:12], -v[3:4], v[7:8], 1.0
	v_fma_f64 v[7:8], v[7:8], v[11:12], v[7:8]
	v_div_scale_f64 v[11:12], vcc_lo, 1.0, v[1:2], 1.0
	s_delay_alu instid0(VALU_DEP_1) | instskip(NEXT) | instid1(VALU_DEP_1)
	v_mul_f64 v[13:14], v[11:12], v[7:8]
	v_fma_f64 v[3:4], -v[3:4], v[13:14], v[11:12]
	s_delay_alu instid0(VALU_DEP_1) | instskip(NEXT) | instid1(VALU_DEP_1)
	v_div_fmas_f64 v[3:4], v[3:4], v[7:8], v[13:14]
	v_div_fixup_f64 v[7:8], v[3:4], v[1:2], 1.0
                                        ; implicit-def: $vgpr1_vgpr2
	s_delay_alu instid0(VALU_DEP_1)
	v_mul_f64 v[5:6], v[5:6], v[7:8]
	v_xor_b32_e32 v8, 0x80000000, v8
.LBB13_21:
	s_and_not1_saveexec_b32 s3, s3
	s_cbranch_execz .LBB13_23
; %bb.22:
	v_div_scale_f64 v[5:6], null, v[1:2], v[1:2], v[3:4]
	v_div_scale_f64 v[13:14], vcc_lo, v[3:4], v[1:2], v[3:4]
	s_delay_alu instid0(VALU_DEP_2) | instskip(SKIP_2) | instid1(VALU_DEP_1)
	v_rcp_f64_e32 v[7:8], v[5:6]
	s_waitcnt_depctr 0xfff
	v_fma_f64 v[11:12], -v[5:6], v[7:8], 1.0
	v_fma_f64 v[7:8], v[7:8], v[11:12], v[7:8]
	s_delay_alu instid0(VALU_DEP_1) | instskip(NEXT) | instid1(VALU_DEP_1)
	v_fma_f64 v[11:12], -v[5:6], v[7:8], 1.0
	v_fma_f64 v[7:8], v[7:8], v[11:12], v[7:8]
	s_delay_alu instid0(VALU_DEP_1) | instskip(NEXT) | instid1(VALU_DEP_1)
	v_mul_f64 v[11:12], v[13:14], v[7:8]
	v_fma_f64 v[5:6], -v[5:6], v[11:12], v[13:14]
	s_delay_alu instid0(VALU_DEP_1) | instskip(NEXT) | instid1(VALU_DEP_1)
	v_div_fmas_f64 v[5:6], v[5:6], v[7:8], v[11:12]
	v_div_fixup_f64 v[7:8], v[5:6], v[1:2], v[3:4]
	s_delay_alu instid0(VALU_DEP_1) | instskip(NEXT) | instid1(VALU_DEP_1)
	v_fma_f64 v[1:2], v[3:4], v[7:8], v[1:2]
	v_div_scale_f64 v[3:4], null, v[1:2], v[1:2], 1.0
	s_delay_alu instid0(VALU_DEP_1) | instskip(SKIP_2) | instid1(VALU_DEP_1)
	v_rcp_f64_e32 v[5:6], v[3:4]
	s_waitcnt_depctr 0xfff
	v_fma_f64 v[11:12], -v[3:4], v[5:6], 1.0
	v_fma_f64 v[5:6], v[5:6], v[11:12], v[5:6]
	s_delay_alu instid0(VALU_DEP_1) | instskip(NEXT) | instid1(VALU_DEP_1)
	v_fma_f64 v[11:12], -v[3:4], v[5:6], 1.0
	v_fma_f64 v[5:6], v[5:6], v[11:12], v[5:6]
	v_div_scale_f64 v[11:12], vcc_lo, 1.0, v[1:2], 1.0
	s_delay_alu instid0(VALU_DEP_1) | instskip(NEXT) | instid1(VALU_DEP_1)
	v_mul_f64 v[13:14], v[11:12], v[5:6]
	v_fma_f64 v[3:4], -v[3:4], v[13:14], v[11:12]
	s_delay_alu instid0(VALU_DEP_1) | instskip(NEXT) | instid1(VALU_DEP_1)
	v_div_fmas_f64 v[3:4], v[3:4], v[5:6], v[13:14]
	v_div_fixup_f64 v[5:6], v[3:4], v[1:2], 1.0
	s_delay_alu instid0(VALU_DEP_1)
	v_mul_f64 v[7:8], v[7:8], -v[5:6]
.LBB13_23:
	s_or_b32 exec_lo, exec_lo, s3
.LBB13_24:
	s_delay_alu instid0(SALU_CYCLE_1)
	s_or_b32 exec_lo, exec_lo, s5
	s_branch .LBB13_26
.LBB13_25:
	v_mov_b32_e32 v5, 0
	v_dual_mov_b32 v6, 0x3ff00000 :: v_dual_mov_b32 v7, 0
	v_mov_b32_e32 v8, 0
.LBB13_26:
	ds_store_b128 v10, v[5:8]
.LBB13_27:
	s_or_b32 exec_lo, exec_lo, s4
	s_delay_alu instid0(VALU_DEP_1)
	v_lshlrev_b32_e32 v5, 4, v9
	v_add_lshl_u32 v6, v0, s18, 4
	s_lshl_b32 s19, s18, 4
	s_mov_b32 s3, 16
	s_add_i32 s4, s19, 16
	s_mov_b32 s5, 0
	s_waitcnt vmcnt(0) lgkmcnt(0)
	s_waitcnt_vscnt null, 0x0
	; wave barrier
	s_waitcnt lgkmcnt(0)
	buffer_gl0_inv
	s_branch .LBB13_29
.LBB13_28:                              ;   in Loop: Header=BB13_29 Depth=1
	s_set_inst_prefetch_distance 0x2
	v_add_nc_u32_e32 v6, s19, v6
	s_add_i32 s3, s3, s4
	s_cmp_eq_u32 s5, s18
	s_waitcnt vmcnt(0) lgkmcnt(0)
	s_waitcnt_vscnt null, 0x0
	; wave barrier
	buffer_gl0_inv
	s_cbranch_scc1 .LBB13_38
.LBB13_29:                              ; =>This Loop Header: Depth=1
                                        ;     Child Loop BB13_34 Depth 2
	v_mov_b32_e32 v1, 0
	v_mov_b32_e32 v2, 0
	s_mul_i32 s7, s5, s18
	s_mov_b32 s6, exec_lo
	v_add_lshl_u32 v7, s7, v0, 4
	s_delay_alu instid0(VALU_DEP_2)
	v_dual_mov_b32 v4, v2 :: v_dual_mov_b32 v3, v1
	v_cmpx_lt_u32_e64 s5, v0
	s_cbranch_execz .LBB13_31
; %bb.30:                               ;   in Loop: Header=BB13_29 Depth=1
	s_add_i32 s7, s7, s5
	s_delay_alu instid0(SALU_CYCLE_1) | instskip(NEXT) | instid1(SALU_CYCLE_1)
	s_lshl_b32 s7, s7, 4
	v_mov_b32_e32 v1, s7
	ds_load_b128 v[1:4], v1
	ds_load_b128 v[8:11], v7
	s_waitcnt lgkmcnt(0)
	v_mul_f64 v[12:13], v[3:4], v[10:11]
	v_mul_f64 v[10:11], v[1:2], v[10:11]
	s_delay_alu instid0(VALU_DEP_2) | instskip(NEXT) | instid1(VALU_DEP_2)
	v_fma_f64 v[1:2], v[1:2], v[8:9], -v[12:13]
	v_fma_f64 v[3:4], v[3:4], v[8:9], v[10:11]
	s_delay_alu instid0(VALU_DEP_2) | instskip(NEXT) | instid1(VALU_DEP_2)
	v_add_f64 v[1:2], v[1:2], 0
	v_add_f64 v[3:4], v[3:4], 0
.LBB13_31:                              ;   in Loop: Header=BB13_29 Depth=1
	s_or_b32 exec_lo, exec_lo, s6
	s_add_i32 s5, s5, 1
	s_delay_alu instid0(SALU_CYCLE_1)
	s_cmp_ge_i32 s5, s18
	; wave barrier
	buffer_gl0_inv
	s_cbranch_scc1 .LBB13_28
; %bb.32:                               ;   in Loop: Header=BB13_29 Depth=1
	v_mov_b32_e32 v8, v6
	s_mov_b32 s6, s3
	s_mov_b32 s7, s5
	s_set_inst_prefetch_distance 0x1
	s_branch .LBB13_34
	.p2align	6
.LBB13_33:                              ;   in Loop: Header=BB13_34 Depth=2
	s_or_b32 exec_lo, exec_lo, s12
	v_add_nc_u32_e32 v8, s19, v8
	s_add_i32 s7, s7, 1
	s_add_i32 s6, s6, 16
	s_cmp_ge_i32 s7, s18
	s_waitcnt vmcnt(0) lgkmcnt(0)
	s_waitcnt_vscnt null, 0x0
	; wave barrier
	buffer_gl0_inv
	s_cbranch_scc1 .LBB13_28
.LBB13_34:                              ;   Parent Loop BB13_29 Depth=1
                                        ; =>  This Inner Loop Header: Depth=2
	s_mov_b32 s12, exec_lo
	v_cmpx_eq_u32_e64 s7, v0
	s_cbranch_execz .LBB13_36
; %bb.35:                               ;   in Loop: Header=BB13_34 Depth=2
	ds_load_b128 v[9:12], v5
	v_add_f64 v[13:14], -v[1:2], 0
	s_waitcnt lgkmcnt(0)
	v_mul_f64 v[15:16], v[3:4], v[11:12]
	v_mul_f64 v[17:18], v[3:4], v[9:10]
	s_delay_alu instid0(VALU_DEP_2) | instskip(NEXT) | instid1(VALU_DEP_2)
	v_fma_f64 v[9:10], v[13:14], v[9:10], v[15:16]
	v_fma_f64 v[11:12], v[13:14], v[11:12], -v[17:18]
	ds_store_b128 v7, v[9:12]
.LBB13_36:                              ;   in Loop: Header=BB13_34 Depth=2
	s_or_b32 exec_lo, exec_lo, s12
	s_delay_alu instid0(SALU_CYCLE_1)
	s_mov_b32 s12, exec_lo
	s_waitcnt vmcnt(0) lgkmcnt(0)
	s_waitcnt_vscnt null, 0x0
	; wave barrier
	s_waitcnt lgkmcnt(0)
	buffer_gl0_inv
	v_cmpx_lt_u32_e64 s7, v0
	s_cbranch_execz .LBB13_33
; %bb.37:                               ;   in Loop: Header=BB13_34 Depth=2
	v_mov_b32_e32 v13, s6
	ds_load_b128 v[9:12], v8
	ds_load_b128 v[13:16], v13
	s_waitcnt lgkmcnt(0)
	v_mul_f64 v[17:18], v[15:16], v[11:12]
	v_mul_f64 v[11:12], v[13:14], v[11:12]
	s_delay_alu instid0(VALU_DEP_2) | instskip(NEXT) | instid1(VALU_DEP_2)
	v_fma_f64 v[13:14], v[13:14], v[9:10], -v[17:18]
	v_fma_f64 v[9:10], v[15:16], v[9:10], v[11:12]
	s_delay_alu instid0(VALU_DEP_2) | instskip(NEXT) | instid1(VALU_DEP_2)
	v_add_f64 v[1:2], v[1:2], v[13:14]
	v_add_f64 v[3:4], v[3:4], v[9:10]
	s_branch .LBB13_33
.LBB13_38:
	s_and_saveexec_b32 s3, s2
	s_cbranch_execz .LBB13_51
; %bb.39:
	s_clause 0x1
	s_load_b128 s[4:7], s[0:1], 0x50
	s_load_b32 s2, s[0:1], 0x48
	v_lshlrev_b32_e32 v3, 4, v0
	s_waitcnt lgkmcnt(0)
	s_mul_i32 s0, s15, s5
	s_mul_hi_u32 s1, s15, s4
	s_mul_i32 s3, s14, s7
	s_mul_hi_u32 s7, s14, s6
	s_add_i32 s5, s1, s0
	s_add_i32 s7, s7, s3
	s_mul_i32 s4, s15, s4
	s_mul_i32 s6, s14, s6
	s_cmpk_lg_i32 s16, 0x7a
	s_mov_b32 s0, -1
	s_cbranch_scc0 .LBB13_43
; %bb.40:
	s_add_i32 s14, s18, -1
	s_lshl_b64 s[0:1], s[6:7], 4
	s_lshl_b64 s[12:13], s[4:5], 4
	s_ashr_i32 s3, s2, 31
	s_add_u32 s12, s0, s12
	s_mul_i32 s0, s3, s14
	s_mul_hi_u32 s15, s2, s14
	s_addc_u32 s13, s1, s13
	s_add_i32 s1, s15, s0
	s_mul_i32 s0, s2, s14
	v_lshlrev_b32_e32 v1, 4, v0
	s_lshl_b64 s[0:1], s[0:1], 4
	s_delay_alu instid0(SALU_CYCLE_1)
	s_add_u32 s12, s12, s0
	s_addc_u32 s13, s13, s1
	s_lshl_b64 s[0:1], s[10:11], 4
	v_sub_nc_u32_e32 v4, s19, v1
	s_add_u32 s0, s12, s0
	s_addc_u32 s1, s13, s1
	s_add_u32 s0, s8, s0
	s_addc_u32 s1, s9, s1
	v_add_co_u32 v1, s0, s0, v1
	s_lshl_b64 s[12:13], s[2:3], 4
	v_add_co_ci_u32_e64 v2, null, s1, 0, s0
	v_add_nc_u32_e32 v4, -16, v4
	s_sub_u32 s1, 0, s12
	s_subb_u32 s12, 0, s13
	s_mov_b32 s3, 0
	s_mov_b32 s13, s18
.LBB13_41:                              ; =>This Inner Loop Header: Depth=1
	ds_load_2addr_b64 v[5:8], v4 offset1:1
	s_add_i32 s13, s13, -1
	v_add_nc_u32_e32 v4, s19, v4
	v_cmp_le_i32_e32 vcc_lo, s13, v0
	s_or_b32 s3, vcc_lo, s3
	s_waitcnt lgkmcnt(0)
	global_store_b128 v[1:2], v[5:8], off
	v_add_co_u32 v1, s0, v1, s1
	s_delay_alu instid0(VALU_DEP_1)
	v_add_co_ci_u32_e64 v2, s0, s12, v2, s0
	s_and_not1_b32 exec_lo, exec_lo, s3
	s_cbranch_execnz .LBB13_41
; %bb.42:
	s_or_b32 exec_lo, exec_lo, s3
	s_mov_b32 s0, 0
.LBB13_43:
	s_delay_alu instid0(SALU_CYCLE_1)
	s_and_b32 vcc_lo, exec_lo, s0
	s_cbranch_vccz .LBB13_51
; %bb.44:
	v_dual_mov_b32 v4, 0 :: v_dual_add_nc_u32 v5, 1, v0
	s_ashr_i32 s3, s2, 31
	s_mov_b32 s1, exec_lo
	v_cmpx_lt_u32_e32 2, v0
	s_cbranch_execz .LBB13_48
; %bb.45:
	s_lshl_b64 s[12:13], s[4:5], 4
	v_and_b32_e32 v4, 28, v5
	s_add_u32 s0, s8, s12
	s_addc_u32 s14, s9, s13
	s_lshl_b64 s[12:13], s[10:11], 4
	v_mov_b32_e32 v6, v3
	s_add_u32 s0, s0, s12
	s_addc_u32 s14, s14, s13
	s_lshl_b64 s[12:13], s[6:7], 4
	s_mul_hi_i32 s20, s2, 48
	s_add_u32 s0, s0, s12
	s_addc_u32 s12, s14, s13
	v_add_co_u32 v1, s0, s0, v3
	s_delay_alu instid0(VALU_DEP_1)
	v_add_co_ci_u32_e64 v2, null, s12, 0, s0
	s_mul_i32 s21, s2, 48
	s_lshl_b64 s[12:13], s[2:3], 6
	s_lshl_b64 s[14:15], s[2:3], 5
	;; [unrolled: 1-line block ×3, first 2 shown]
	s_lshl_b32 s22, s18, 6
	s_lshl_b32 s23, s18, 5
	s_mul_i32 s25, s18, 48
	s_mov_b32 s24, 0
	s_mov_b32 s26, 0
	s_set_inst_prefetch_distance 0x1
	.p2align	6
.LBB13_46:                              ; =>This Inner Loop Header: Depth=1
	ds_load_2addr_b64 v[7:10], v6 offset1:1
	v_add_nc_u32_e32 v11, s19, v6
	v_add_nc_u32_e32 v15, s23, v6
	;; [unrolled: 1-line block ×3, first 2 shown]
	v_add_co_u32 v23, vcc_lo, v1, s16
	ds_load_2addr_b64 v[11:14], v11 offset1:1
	ds_load_2addr_b64 v[15:18], v15 offset1:1
	;; [unrolled: 1-line block ×3, first 2 shown]
	v_add_co_ci_u32_e32 v24, vcc_lo, s17, v2, vcc_lo
	v_add_co_u32 v25, vcc_lo, v1, s14
	v_add_co_ci_u32_e32 v26, vcc_lo, s15, v2, vcc_lo
	v_add_co_u32 v27, vcc_lo, v1, s21
	s_add_i32 s26, s26, 4
	v_add_co_ci_u32_e32 v28, vcc_lo, s20, v2, vcc_lo
	v_cmp_eq_u32_e32 vcc_lo, s26, v4
	v_add_nc_u32_e32 v6, s22, v6
	s_waitcnt lgkmcnt(3)
	global_store_b128 v[1:2], v[7:10], off
	v_add_co_u32 v1, s0, v1, s12
	s_delay_alu instid0(VALU_DEP_1)
	v_add_co_ci_u32_e64 v2, s0, s13, v2, s0
	s_or_b32 s24, vcc_lo, s24
	s_waitcnt lgkmcnt(2)
	global_store_b128 v[23:24], v[11:14], off
	s_waitcnt lgkmcnt(1)
	global_store_b128 v[25:26], v[15:18], off
	;; [unrolled: 2-line block ×3, first 2 shown]
	s_and_not1_b32 exec_lo, exec_lo, s24
	s_cbranch_execnz .LBB13_46
; %bb.47:
	s_set_inst_prefetch_distance 0x2
	s_or_b32 exec_lo, exec_lo, s24
.LBB13_48:
	s_delay_alu instid0(SALU_CYCLE_1) | instskip(SKIP_2) | instid1(VALU_DEP_1)
	s_or_b32 exec_lo, exec_lo, s1
	v_and_b32_e32 v5, 3, v5
	s_mov_b32 s1, 0
	v_cmp_ne_u32_e32 vcc_lo, 0, v5
	s_and_b32 exec_lo, exec_lo, vcc_lo
	s_cbranch_execz .LBB13_51
; %bb.49:
	v_mad_i64_i32 v[1:2], null, s2, v4, 0
	s_lshl_b64 s[6:7], s[6:7], 4
	s_lshl_b64 s[4:5], s[4:5], 4
	v_mul_lo_u32 v4, v4, s18
	s_add_u32 s0, s6, s4
	s_addc_u32 s6, s7, s5
	s_lshl_b64 s[4:5], s[10:11], 4
	s_delay_alu instid0(VALU_DEP_2) | instskip(SKIP_4) | instid1(VALU_DEP_2)
	v_lshlrev_b64 v[1:2], 4, v[1:2]
	s_add_u32 s0, s4, s0
	s_addc_u32 s4, s5, s6
	s_lshl_b64 s[2:3], s[2:3], 4
	v_add_lshl_u32 v0, v0, v4, 4
	v_add_co_u32 v1, vcc_lo, s0, v1
	v_add_co_ci_u32_e32 v2, vcc_lo, s4, v2, vcc_lo
	s_delay_alu instid0(VALU_DEP_2) | instskip(NEXT) | instid1(VALU_DEP_2)
	v_add_co_u32 v1, vcc_lo, v1, v3
	v_add_co_ci_u32_e32 v2, vcc_lo, 0, v2, vcc_lo
	s_delay_alu instid0(VALU_DEP_2) | instskip(NEXT) | instid1(VALU_DEP_2)
	v_add_co_u32 v1, vcc_lo, s8, v1
	v_add_co_ci_u32_e32 v2, vcc_lo, s9, v2, vcc_lo
.LBB13_50:                              ; =>This Inner Loop Header: Depth=1
	ds_load_2addr_b64 v[6:9], v0 offset1:1
	v_add_nc_u32_e32 v5, -1, v5
	v_add_nc_u32_e32 v0, s19, v0
	s_delay_alu instid0(VALU_DEP_2) | instskip(SKIP_4) | instid1(VALU_DEP_1)
	v_cmp_eq_u32_e32 vcc_lo, 0, v5
	s_or_b32 s1, vcc_lo, s1
	s_waitcnt lgkmcnt(0)
	global_store_b128 v[1:2], v[6:9], off
	v_add_co_u32 v1, s0, v1, s2
	v_add_co_ci_u32_e64 v2, s0, s3, v2, s0
	s_and_not1_b32 exec_lo, exec_lo, s1
	s_cbranch_execnz .LBB13_50
.LBB13_51:
	s_nop 0
	s_sendmsg sendmsg(MSG_DEALLOC_VGPRS)
	s_endpgm
	.section	.rodata,"a",@progbits
	.p2align	6, 0x0
	.amdhsa_kernel _ZL26rocblas_trtri_small_kernelILi16E19rocblas_complex_numIdEPKS1_PS1_Ev13rocblas_fill_17rocblas_diagonal_iT1_lillT2_lilli
		.amdhsa_group_segment_fixed_size 4096
		.amdhsa_private_segment_fixed_size 0
		.amdhsa_kernarg_size 100
		.amdhsa_user_sgpr_count 14
		.amdhsa_user_sgpr_dispatch_ptr 0
		.amdhsa_user_sgpr_queue_ptr 0
		.amdhsa_user_sgpr_kernarg_segment_ptr 1
		.amdhsa_user_sgpr_dispatch_id 0
		.amdhsa_user_sgpr_private_segment_size 0
		.amdhsa_wavefront_size32 1
		.amdhsa_uses_dynamic_stack 0
		.amdhsa_enable_private_segment 0
		.amdhsa_system_sgpr_workgroup_id_x 1
		.amdhsa_system_sgpr_workgroup_id_y 0
		.amdhsa_system_sgpr_workgroup_id_z 1
		.amdhsa_system_sgpr_workgroup_info 0
		.amdhsa_system_vgpr_workitem_id 0
		.amdhsa_next_free_vgpr 29
		.amdhsa_next_free_sgpr 41
		.amdhsa_reserve_vcc 1
		.amdhsa_float_round_mode_32 0
		.amdhsa_float_round_mode_16_64 0
		.amdhsa_float_denorm_mode_32 3
		.amdhsa_float_denorm_mode_16_64 3
		.amdhsa_dx10_clamp 1
		.amdhsa_ieee_mode 1
		.amdhsa_fp16_overflow 0
		.amdhsa_workgroup_processor_mode 1
		.amdhsa_memory_ordered 1
		.amdhsa_forward_progress 0
		.amdhsa_shared_vgpr_count 0
		.amdhsa_exception_fp_ieee_invalid_op 0
		.amdhsa_exception_fp_denorm_src 0
		.amdhsa_exception_fp_ieee_div_zero 0
		.amdhsa_exception_fp_ieee_overflow 0
		.amdhsa_exception_fp_ieee_underflow 0
		.amdhsa_exception_fp_ieee_inexact 0
		.amdhsa_exception_int_div_zero 0
	.end_amdhsa_kernel
	.section	.text._ZL26rocblas_trtri_small_kernelILi16E19rocblas_complex_numIdEPKS1_PS1_Ev13rocblas_fill_17rocblas_diagonal_iT1_lillT2_lilli,"axG",@progbits,_ZL26rocblas_trtri_small_kernelILi16E19rocblas_complex_numIdEPKS1_PS1_Ev13rocblas_fill_17rocblas_diagonal_iT1_lillT2_lilli,comdat
.Lfunc_end13:
	.size	_ZL26rocblas_trtri_small_kernelILi16E19rocblas_complex_numIdEPKS1_PS1_Ev13rocblas_fill_17rocblas_diagonal_iT1_lillT2_lilli, .Lfunc_end13-_ZL26rocblas_trtri_small_kernelILi16E19rocblas_complex_numIdEPKS1_PS1_Ev13rocblas_fill_17rocblas_diagonal_iT1_lillT2_lilli
                                        ; -- End function
	.section	.AMDGPU.csdata,"",@progbits
; Kernel info:
; codeLenInByte = 2964
; NumSgprs: 43
; NumVgprs: 29
; ScratchSize: 0
; MemoryBound: 0
; FloatMode: 240
; IeeeMode: 1
; LDSByteSize: 4096 bytes/workgroup (compile time only)
; SGPRBlocks: 5
; VGPRBlocks: 3
; NumSGPRsForWavesPerEU: 43
; NumVGPRsForWavesPerEU: 29
; Occupancy: 8
; WaveLimiterHint : 0
; COMPUTE_PGM_RSRC2:SCRATCH_EN: 0
; COMPUTE_PGM_RSRC2:USER_SGPR: 14
; COMPUTE_PGM_RSRC2:TRAP_HANDLER: 0
; COMPUTE_PGM_RSRC2:TGID_X_EN: 1
; COMPUTE_PGM_RSRC2:TGID_Y_EN: 0
; COMPUTE_PGM_RSRC2:TGID_Z_EN: 1
; COMPUTE_PGM_RSRC2:TIDIG_COMP_CNT: 0
	.section	.text._ZL29rocblas_trtri_diagonal_kernelILi16E19rocblas_complex_numIdEPKS1_PS1_Ev13rocblas_fill_17rocblas_diagonal_iT1_lillT2_lilli,"axG",@progbits,_ZL29rocblas_trtri_diagonal_kernelILi16E19rocblas_complex_numIdEPKS1_PS1_Ev13rocblas_fill_17rocblas_diagonal_iT1_lillT2_lilli,comdat
	.globl	_ZL29rocblas_trtri_diagonal_kernelILi16E19rocblas_complex_numIdEPKS1_PS1_Ev13rocblas_fill_17rocblas_diagonal_iT1_lillT2_lilli ; -- Begin function _ZL29rocblas_trtri_diagonal_kernelILi16E19rocblas_complex_numIdEPKS1_PS1_Ev13rocblas_fill_17rocblas_diagonal_iT1_lillT2_lilli
	.p2align	8
	.type	_ZL29rocblas_trtri_diagonal_kernelILi16E19rocblas_complex_numIdEPKS1_PS1_Ev13rocblas_fill_17rocblas_diagonal_iT1_lillT2_lilli,@function
_ZL29rocblas_trtri_diagonal_kernelILi16E19rocblas_complex_numIdEPKS1_PS1_Ev13rocblas_fill_17rocblas_diagonal_iT1_lillT2_lilli: ; @_ZL29rocblas_trtri_diagonal_kernelILi16E19rocblas_complex_numIdEPKS1_PS1_Ev13rocblas_fill_17rocblas_diagonal_iT1_lillT2_lilli
; %bb.0:
	s_load_b128 s[8:11], s[0:1], 0x0
	s_waitcnt lgkmcnt(0)
	s_ashr_i32 s2, s10, 31
	s_delay_alu instid0(SALU_CYCLE_1) | instskip(NEXT) | instid1(SALU_CYCLE_1)
	s_lshr_b32 s2, s2, 27
	s_add_i32 s2, s10, s2
	s_delay_alu instid0(SALU_CYCLE_1) | instskip(NEXT) | instid1(SALU_CYCLE_1)
	s_ashr_i32 s2, s2, 5
	v_cvt_f32_u32_e32 v1, s2
	s_sub_i32 s4, 0, s2
	s_delay_alu instid0(VALU_DEP_1) | instskip(SKIP_2) | instid1(VALU_DEP_1)
	v_rcp_iflag_f32_e32 v1, v1
	s_waitcnt_depctr 0xfff
	v_mul_f32_e32 v1, 0x4f7ffffe, v1
	v_cvt_u32_f32_e32 v1, v1
	s_delay_alu instid0(VALU_DEP_1) | instskip(NEXT) | instid1(VALU_DEP_1)
	v_readfirstlane_b32 s3, v1
	s_mul_i32 s4, s4, s3
	s_delay_alu instid0(SALU_CYCLE_1) | instskip(NEXT) | instid1(SALU_CYCLE_1)
	s_mul_hi_u32 s4, s3, s4
	s_add_i32 s3, s3, s4
	s_delay_alu instid0(SALU_CYCLE_1) | instskip(NEXT) | instid1(SALU_CYCLE_1)
	s_mul_hi_u32 s3, s14, s3
	s_mul_i32 s4, s3, s2
	s_add_i32 s5, s3, 1
	s_sub_i32 s4, s14, s4
	s_delay_alu instid0(SALU_CYCLE_1)
	s_sub_i32 s6, s4, s2
	s_cmp_ge_u32 s4, s2
	s_cselect_b32 s3, s5, s3
	s_cselect_b32 s4, s6, s4
	s_add_i32 s5, s3, 1
	s_cmp_ge_u32 s4, s2
	s_cselect_b32 s29, s5, s3
	s_delay_alu instid0(SALU_CYCLE_1) | instskip(NEXT) | instid1(SALU_CYCLE_1)
	s_mul_i32 s2, s29, s2
	s_sub_i32 s30, s14, s2
	s_delay_alu instid0(SALU_CYCLE_1) | instskip(NEXT) | instid1(SALU_CYCLE_1)
	s_lshl_b32 s2, s30, 4
	s_cmp_eq_u32 s10, s2
	s_cbranch_scc1 .LBB14_108
; %bb.1:
	s_sub_i32 s28, s10, s2
	v_mov_b32_e32 v9, v0
	s_min_u32 s14, s28, 16
	s_delay_alu instid0(SALU_CYCLE_1) | instskip(SKIP_4) | instid1(VALU_DEP_3)
	s_lshl_b32 s6, s14, 1
	v_cmp_gt_u32_e64 s4, s14, v0
	v_cmp_le_u32_e64 s2, s14, v0
	v_cmp_gt_u32_e64 s3, s6, v0
	v_cmp_le_u32_e32 vcc_lo, s6, v0
	s_and_saveexec_b32 s5, s2
	s_cbranch_execz .LBB14_7
; %bb.2:
                                        ; implicit-def: $vgpr9
	s_and_saveexec_b32 s7, vcc_lo
	s_delay_alu instid0(SALU_CYCLE_1)
	s_xor_b32 s7, exec_lo, s7
; %bb.3:
	v_subrev_nc_u32_e32 v9, s6, v0
; %bb.4:
	s_and_not1_saveexec_b32 s6, s7
; %bb.5:
	v_subrev_nc_u32_e32 v9, s14, v0
; %bb.6:
	s_or_b32 exec_lo, exec_lo, s6
.LBB14_7:
	s_delay_alu instid0(SALU_CYCLE_1)
	s_or_b32 exec_lo, exec_lo, s5
	s_clause 0x2
	s_load_b32 s6, s[0:1], 0x20
	s_load_b256 s[16:23], s[0:1], 0x28
	s_load_b128 s[24:27], s[0:1], 0x10
	v_cndmask_b32_e64 v1, 0, 0x3000, s3
	s_delay_alu instid0(VALU_DEP_1)
	v_cndmask_b32_e64 v11, v1, 0x2000, s4
	s_waitcnt lgkmcnt(0)
	s_ashr_i32 s7, s6, 31
	s_mul_i32 s5, s15, s17
	s_mul_hi_u32 s12, s15, s16
	s_lshl_b64 s[10:11], s[6:7], 5
	s_add_i32 s5, s12, s5
	s_add_u32 s10, s10, 32
	s_addc_u32 s11, s11, 0
	s_mul_i32 s4, s15, s16
	s_mul_i32 s13, s29, s19
	s_mul_hi_u32 s16, s29, s18
	s_mul_hi_u32 s12, s10, s30
	s_mul_i32 s11, s11, s30
	s_add_i32 s13, s16, s13
	s_mul_i32 s10, s10, s30
	s_add_i32 s11, s12, s11
	s_mul_i32 s12, s29, s18
	s_and_saveexec_b32 s16, vcc_lo
	s_delay_alu instid0(SALU_CYCLE_1)
	s_xor_b32 s18, exec_lo, s16
	s_cbranch_execz .LBB14_17
; %bb.8:
	s_mul_i32 s16, s14, 3
	s_mov_b32 s19, exec_lo
	v_cmpx_gt_u32_e64 s16, v0
	s_cbranch_execz .LBB14_16
; %bb.9:
	s_cmpk_eq_i32 s8, 0x7a
	s_mov_b32 s16, -1
	s_cbranch_scc1 .LBB14_13
; %bb.10:
	s_add_i32 s34, s14, -1
	s_lshl_b32 s33, s14, 4
	s_mul_i32 s17, s14, s34
	s_lshl_b64 s[36:37], s[12:13], 4
	s_lshl_b64 s[38:39], s[4:5], 4
	s_add_i32 s16, s14, 1
	s_lshl_b32 s31, s17, 4
	s_sub_i32 s17, 0, s33
	s_add_u32 s38, s36, s38
	s_addc_u32 s39, s37, s39
	s_lshl_b64 s[36:37], s[10:11], 4
	s_mov_b32 s35, 0
	v_lshlrev_b32_e32 v1, 4, v9
	s_add_u32 s36, s38, s36
	s_addc_u32 s37, s39, s37
	s_lshl_b64 s[34:35], s[34:35], 4
	v_ashrrev_i32_e32 v10, 31, v9
	s_add_u32 s33, s33, s34
	v_add3_u32 v3, s31, v1, v11
	s_mul_i32 s31, s33, s7
	s_mul_hi_u32 s34, s33, s6
	s_addc_u32 s35, 0, s35
	s_add_i32 s31, s34, s31
	s_mul_i32 s35, s35, s6
	s_mul_i32 s33, s33, s6
	s_add_i32 s31, s31, s35
	s_add_u32 s33, s36, s33
	s_addc_u32 s31, s37, s31
	s_lshl_b64 s[34:35], s[26:27], 4
	v_lshlrev_b64 v[1:2], 4, v[9:10]
	s_add_u32 s33, s33, s34
	s_addc_u32 s31, s31, s35
	s_add_u32 s33, s24, s33
	s_addc_u32 s31, s25, s31
	s_lshl_b64 s[34:35], s[6:7], 4
	v_add_co_u32 v1, vcc_lo, s33, v1
	v_add_co_ci_u32_e32 v2, vcc_lo, s31, v2, vcc_lo
	s_sub_u32 s31, 0, s34
	s_subb_u32 s33, 0, s35
.LBB14_11:                              ; =>This Inner Loop Header: Depth=1
	global_load_b128 v[4:7], v[1:2], off
	v_add_co_u32 v1, vcc_lo, v1, s31
	v_add_co_ci_u32_e32 v2, vcc_lo, s33, v2, vcc_lo
	s_add_i32 s16, s16, -1
	s_delay_alu instid0(SALU_CYCLE_1)
	s_cmp_gt_u32 s16, 1
	s_waitcnt vmcnt(0)
	ds_store_2addr_b64 v3, v[4:5], v[6:7] offset1:1
	v_add_nc_u32_e32 v3, s17, v3
	s_cbranch_scc1 .LBB14_11
; %bb.12:
	s_mov_b32 s16, 0
.LBB14_13:
	s_delay_alu instid0(SALU_CYCLE_1)
	s_and_b32 vcc_lo, exec_lo, s16
	s_cbranch_vccz .LBB14_16
; %bb.14:
	v_add_nc_u32_e32 v1, s14, v9
	s_lshl_b64 s[16:17], s[4:5], 4
	v_lshl_add_u32 v3, v9, 4, v11
	s_add_u32 s31, s24, s16
	s_addc_u32 s33, s25, s17
	v_ashrrev_i32_e32 v2, 31, v1
	s_lshl_b64 s[16:17], s[26:27], 4
	s_delay_alu instid0(SALU_CYCLE_1)
	s_add_u32 s31, s31, s16
	s_addc_u32 s33, s33, s17
	s_lshl_b64 s[16:17], s[10:11], 4
	v_lshlrev_b64 v[1:2], 4, v[1:2]
	s_add_u32 s31, s31, s16
	s_addc_u32 s33, s33, s17
	s_lshl_b64 s[16:17], s[12:13], 4
	s_delay_alu instid0(SALU_CYCLE_1)
	s_add_u32 s16, s31, s16
	s_addc_u32 s17, s33, s17
	v_add_co_u32 v1, vcc_lo, s16, v1
	v_add_co_ci_u32_e32 v2, vcc_lo, s17, v2, vcc_lo
	s_lshl_b32 s31, s14, 4
	s_lshl_b64 s[16:17], s[6:7], 4
	s_mov_b32 s33, s14
.LBB14_15:                              ; =>This Inner Loop Header: Depth=1
	global_load_b128 v[4:7], v[1:2], off
	v_add_co_u32 v1, vcc_lo, v1, s16
	v_add_co_ci_u32_e32 v2, vcc_lo, s17, v2, vcc_lo
	s_add_i32 s33, s33, -1
	s_delay_alu instid0(SALU_CYCLE_1)
	s_cmp_eq_u32 s33, 0
	s_waitcnt vmcnt(0)
	ds_store_2addr_b64 v3, v[4:5], v[6:7] offset1:1
	v_add_nc_u32_e32 v3, s31, v3
	s_cbranch_scc0 .LBB14_15
.LBB14_16:
	s_or_b32 exec_lo, exec_lo, s19
.LBB14_17:
	s_and_not1_saveexec_b32 s16, s18
	s_cbranch_execz .LBB14_31
; %bb.18:
	v_mov_b32_e32 v1, 0
	v_mov_b32_e32 v2, 0
	s_and_saveexec_b32 s17, s2
; %bb.19:
	s_add_u32 s18, s6, 1
	s_addc_u32 s19, s7, 0
	s_mul_hi_u32 s31, s18, s14
	s_mul_i32 s19, s19, s14
	s_mul_i32 s18, s18, s14
	s_add_i32 s19, s31, s19
	s_delay_alu instid0(SALU_CYCLE_1)
	v_dual_mov_b32 v1, s18 :: v_dual_mov_b32 v2, s19
; %bb.20:
	s_or_b32 exec_lo, exec_lo, s17
	s_delay_alu instid0(VALU_DEP_1)
	v_lshlrev_b64 v[5:6], 4, v[1:2]
	s_cmpk_lg_i32 s8, 0x7a
	s_mov_b32 s17, -1
	s_cbranch_scc0 .LBB14_26
; %bb.21:
	s_lshl_b64 s[34:35], s[12:13], 4
	s_lshl_b64 s[36:37], s[4:5], 4
	s_add_i32 s17, s14, -1
	s_lshl_b32 s18, s14, 4
	s_add_u32 s19, s34, s36
	s_addc_u32 s31, s35, s37
	s_lshl_b64 s[34:35], s[10:11], 4
	s_mul_i32 s33, s7, s17
	s_add_u32 s19, s19, s34
	s_mul_hi_u32 s34, s6, s17
	s_addc_u32 s31, s31, s35
	s_add_i32 s35, s34, s33
	s_mul_i32 s34, s6, s17
	v_ashrrev_i32_e32 v10, 31, v9
	s_lshl_b64 s[34:35], s[34:35], 4
	s_delay_alu instid0(SALU_CYCLE_1)
	s_add_u32 s19, s19, s34
	s_addc_u32 s31, s31, s35
	s_lshl_b64 s[34:35], s[26:27], 4
	v_lshlrev_b64 v[1:2], 4, v[9:10]
	s_add_u32 s19, s34, s19
	s_addc_u32 s31, s35, s31
	v_add_co_u32 v3, vcc_lo, s19, v5
	v_add_co_ci_u32_e32 v4, vcc_lo, s31, v6, vcc_lo
	s_lshl_b64 s[34:35], s[6:7], 4
	s_delay_alu instid0(VALU_DEP_2) | instskip(NEXT) | instid1(VALU_DEP_2)
	v_add_co_u32 v1, vcc_lo, v3, v1
	v_add_co_ci_u32_e32 v2, vcc_lo, v4, v2, vcc_lo
	v_sub_nc_u32_e32 v3, s17, v9
	s_delay_alu instid0(VALU_DEP_3) | instskip(NEXT) | instid1(VALU_DEP_3)
	v_add_co_u32 v1, vcc_lo, v1, s24
	v_add_co_ci_u32_e32 v2, vcc_lo, s25, v2, vcc_lo
	s_delay_alu instid0(VALU_DEP_3) | instskip(NEXT) | instid1(VALU_DEP_3)
	v_lshl_add_u32 v10, v3, 4, v11
	v_add_co_u32 v7, vcc_lo, v1, 8
	s_delay_alu instid0(VALU_DEP_3)
	v_add_co_ci_u32_e32 v8, vcc_lo, 0, v2, vcc_lo
	s_sub_u32 s19, 0, s34
	s_subb_u32 s31, 0, s35
	s_branch .LBB14_23
	.p2align	6
.LBB14_22:                              ;   in Loop: Header=BB14_23 Depth=1
	s_or_b32 exec_lo, exec_lo, s33
	v_add_co_u32 v7, vcc_lo, v7, s19
	s_waitcnt vmcnt(0)
	ds_store_b128 v10, v[1:4]
	v_add_nc_u32_e32 v10, s18, v10
	v_add_co_ci_u32_e32 v8, vcc_lo, s31, v8, vcc_lo
	s_add_i32 s17, s17, -1
	s_delay_alu instid0(SALU_CYCLE_1)
	s_cmp_eq_u32 s17, -1
	s_cbranch_scc1 .LBB14_25
.LBB14_23:                              ; =>This Inner Loop Header: Depth=1
	v_mov_b32_e32 v1, 0
	v_mov_b32_e32 v2, 0
	s_mov_b32 s33, exec_lo
	s_delay_alu instid0(VALU_DEP_1)
	v_dual_mov_b32 v4, v2 :: v_dual_mov_b32 v3, v1
	v_cmpx_ge_i32_e64 s17, v9
	s_cbranch_execz .LBB14_22
; %bb.24:                               ;   in Loop: Header=BB14_23 Depth=1
	global_load_b128 v[1:4], v[7:8], off offset:-8
	s_branch .LBB14_22
.LBB14_25:
	s_mov_b32 s17, 0
.LBB14_26:
	s_delay_alu instid0(SALU_CYCLE_1)
	s_and_b32 vcc_lo, exec_lo, s17
	s_cbranch_vccz .LBB14_31
; %bb.27:
	s_lshl_b64 s[18:19], s[12:13], 4
	s_lshl_b64 s[4:5], s[4:5], 4
	s_lshl_b32 s12, s14, 4
	s_add_u32 s13, s18, s4
	s_addc_u32 s17, s19, s5
	s_lshl_b64 s[4:5], s[10:11], 4
	v_ashrrev_i32_e32 v10, 31, v9
	s_add_u32 s10, s13, s4
	s_addc_u32 s11, s17, s5
	s_lshl_b64 s[4:5], s[26:27], 4
	v_lshl_add_u32 v7, v9, 4, v11
	s_add_u32 s4, s4, s10
	v_lshlrev_b64 v[1:2], 4, v[9:10]
	s_addc_u32 s5, s5, s11
	v_add_co_u32 v3, vcc_lo, s4, v5
	v_add_co_ci_u32_e32 v4, vcc_lo, s5, v6, vcc_lo
	s_lshl_b64 s[4:5], s[6:7], 4
	s_delay_alu instid0(VALU_DEP_2) | instskip(NEXT) | instid1(VALU_DEP_2)
	v_add_co_u32 v1, vcc_lo, v3, v1
	v_add_co_ci_u32_e32 v2, vcc_lo, v4, v2, vcc_lo
	s_mov_b32 s6, 0
	s_delay_alu instid0(VALU_DEP_2) | instskip(NEXT) | instid1(VALU_DEP_2)
	v_add_co_u32 v1, vcc_lo, v1, s24
	v_add_co_ci_u32_e32 v2, vcc_lo, s25, v2, vcc_lo
	s_delay_alu instid0(VALU_DEP_2) | instskip(NEXT) | instid1(VALU_DEP_2)
	v_add_co_u32 v5, vcc_lo, v1, 8
	v_add_co_ci_u32_e32 v6, vcc_lo, 0, v2, vcc_lo
	s_branch .LBB14_29
	.p2align	6
.LBB14_28:                              ;   in Loop: Header=BB14_29 Depth=1
	s_or_b32 exec_lo, exec_lo, s7
	v_add_co_u32 v5, vcc_lo, v5, s4
	s_waitcnt vmcnt(0)
	ds_store_b128 v7, v[1:4]
	v_add_nc_u32_e32 v7, s12, v7
	v_add_co_ci_u32_e32 v6, vcc_lo, s5, v6, vcc_lo
	s_add_i32 s6, s6, 1
	s_delay_alu instid0(SALU_CYCLE_1)
	s_cmp_eq_u32 s14, s6
	s_cbranch_scc1 .LBB14_31
.LBB14_29:                              ; =>This Inner Loop Header: Depth=1
	v_mov_b32_e32 v1, 0
	v_mov_b32_e32 v2, 0
	s_mov_b32 s7, exec_lo
	s_delay_alu instid0(VALU_DEP_1)
	v_dual_mov_b32 v4, v2 :: v_dual_mov_b32 v3, v1
	v_cmpx_le_i32_e64 s6, v9
	s_cbranch_execz .LBB14_28
; %bb.30:                               ;   in Loop: Header=BB14_29 Depth=1
	global_load_b128 v[1:4], v[5:6], off offset:-8
	s_branch .LBB14_28
.LBB14_31:
	s_or_b32 exec_lo, exec_lo, s16
	s_waitcnt lgkmcnt(0)
	s_barrier
	buffer_gl0_inv
	s_and_saveexec_b32 s5, s3
	s_cbranch_execz .LBB14_42
; %bb.32:
	s_add_i32 s4, s14, 1
	s_cmpk_eq_i32 s9, 0x84
	v_mul_i32_i24_e32 v1, s4, v9
	s_delay_alu instid0(VALU_DEP_1)
	v_lshl_add_u32 v10, v1, 4, v11
	s_cbranch_scc1 .LBB14_40
; %bb.33:
	ds_load_b128 v[1:4], v10
	v_mov_b32_e32 v7, 0
	v_dual_mov_b32 v8, 0 :: v_dual_mov_b32 v5, 0
	v_mov_b32_e32 v6, 0x3ff00000
	s_waitcnt lgkmcnt(0)
	v_cmp_neq_f64_e32 vcc_lo, 0, v[1:2]
	v_cmp_neq_f64_e64 s4, 0, v[3:4]
	s_delay_alu instid0(VALU_DEP_1) | instskip(NEXT) | instid1(SALU_CYCLE_1)
	s_or_b32 s4, vcc_lo, s4
	s_and_saveexec_b32 s6, s4
	s_cbranch_execz .LBB14_39
; %bb.34:
	v_cmp_gt_f64_e32 vcc_lo, 0, v[1:2]
	v_cmp_gt_f64_e64 s4, 0, v[3:4]
	v_xor_b32_e32 v5, 0x80000000, v2
	v_xor_b32_e32 v7, 0x80000000, v4
	s_delay_alu instid0(VALU_DEP_2) | instskip(NEXT) | instid1(VALU_DEP_2)
	v_cndmask_b32_e32 v6, v2, v5, vcc_lo
	v_cndmask_b32_e64 v8, v4, v7, s4
	v_cndmask_b32_e32 v5, v1, v1, vcc_lo
	v_cndmask_b32_e64 v7, v3, v3, s4
	s_delay_alu instid0(VALU_DEP_1) | instskip(SKIP_1) | instid1(SALU_CYCLE_1)
	v_cmp_ngt_f64_e32 vcc_lo, v[5:6], v[7:8]
                                        ; implicit-def: $vgpr7_vgpr8
	s_and_saveexec_b32 s4, vcc_lo
	s_xor_b32 s4, exec_lo, s4
	s_cbranch_execz .LBB14_36
; %bb.35:
	v_div_scale_f64 v[5:6], null, v[3:4], v[3:4], v[1:2]
	v_div_scale_f64 v[14:15], vcc_lo, v[1:2], v[3:4], v[1:2]
	s_delay_alu instid0(VALU_DEP_2) | instskip(SKIP_2) | instid1(VALU_DEP_1)
	v_rcp_f64_e32 v[7:8], v[5:6]
	s_waitcnt_depctr 0xfff
	v_fma_f64 v[12:13], -v[5:6], v[7:8], 1.0
	v_fma_f64 v[7:8], v[7:8], v[12:13], v[7:8]
	s_delay_alu instid0(VALU_DEP_1) | instskip(NEXT) | instid1(VALU_DEP_1)
	v_fma_f64 v[12:13], -v[5:6], v[7:8], 1.0
	v_fma_f64 v[7:8], v[7:8], v[12:13], v[7:8]
	s_delay_alu instid0(VALU_DEP_1) | instskip(NEXT) | instid1(VALU_DEP_1)
	v_mul_f64 v[12:13], v[14:15], v[7:8]
	v_fma_f64 v[5:6], -v[5:6], v[12:13], v[14:15]
	s_delay_alu instid0(VALU_DEP_1) | instskip(NEXT) | instid1(VALU_DEP_1)
	v_div_fmas_f64 v[5:6], v[5:6], v[7:8], v[12:13]
	v_div_fixup_f64 v[5:6], v[5:6], v[3:4], v[1:2]
	s_delay_alu instid0(VALU_DEP_1) | instskip(NEXT) | instid1(VALU_DEP_1)
	v_fma_f64 v[1:2], v[1:2], v[5:6], v[3:4]
	v_div_scale_f64 v[3:4], null, v[1:2], v[1:2], 1.0
	s_delay_alu instid0(VALU_DEP_1) | instskip(SKIP_2) | instid1(VALU_DEP_1)
	v_rcp_f64_e32 v[7:8], v[3:4]
	s_waitcnt_depctr 0xfff
	v_fma_f64 v[12:13], -v[3:4], v[7:8], 1.0
	v_fma_f64 v[7:8], v[7:8], v[12:13], v[7:8]
	s_delay_alu instid0(VALU_DEP_1) | instskip(NEXT) | instid1(VALU_DEP_1)
	v_fma_f64 v[12:13], -v[3:4], v[7:8], 1.0
	v_fma_f64 v[7:8], v[7:8], v[12:13], v[7:8]
	v_div_scale_f64 v[12:13], vcc_lo, 1.0, v[1:2], 1.0
	s_delay_alu instid0(VALU_DEP_1) | instskip(NEXT) | instid1(VALU_DEP_1)
	v_mul_f64 v[14:15], v[12:13], v[7:8]
	v_fma_f64 v[3:4], -v[3:4], v[14:15], v[12:13]
	s_delay_alu instid0(VALU_DEP_1) | instskip(NEXT) | instid1(VALU_DEP_1)
	v_div_fmas_f64 v[3:4], v[3:4], v[7:8], v[14:15]
	v_div_fixup_f64 v[7:8], v[3:4], v[1:2], 1.0
                                        ; implicit-def: $vgpr1_vgpr2
	s_delay_alu instid0(VALU_DEP_1)
	v_mul_f64 v[5:6], v[5:6], v[7:8]
	v_xor_b32_e32 v8, 0x80000000, v8
.LBB14_36:
	s_and_not1_saveexec_b32 s4, s4
	s_cbranch_execz .LBB14_38
; %bb.37:
	v_div_scale_f64 v[5:6], null, v[1:2], v[1:2], v[3:4]
	v_div_scale_f64 v[14:15], vcc_lo, v[3:4], v[1:2], v[3:4]
	s_delay_alu instid0(VALU_DEP_2) | instskip(SKIP_2) | instid1(VALU_DEP_1)
	v_rcp_f64_e32 v[7:8], v[5:6]
	s_waitcnt_depctr 0xfff
	v_fma_f64 v[12:13], -v[5:6], v[7:8], 1.0
	v_fma_f64 v[7:8], v[7:8], v[12:13], v[7:8]
	s_delay_alu instid0(VALU_DEP_1) | instskip(NEXT) | instid1(VALU_DEP_1)
	v_fma_f64 v[12:13], -v[5:6], v[7:8], 1.0
	v_fma_f64 v[7:8], v[7:8], v[12:13], v[7:8]
	s_delay_alu instid0(VALU_DEP_1) | instskip(NEXT) | instid1(VALU_DEP_1)
	v_mul_f64 v[12:13], v[14:15], v[7:8]
	v_fma_f64 v[5:6], -v[5:6], v[12:13], v[14:15]
	s_delay_alu instid0(VALU_DEP_1) | instskip(NEXT) | instid1(VALU_DEP_1)
	v_div_fmas_f64 v[5:6], v[5:6], v[7:8], v[12:13]
	v_div_fixup_f64 v[7:8], v[5:6], v[1:2], v[3:4]
	s_delay_alu instid0(VALU_DEP_1) | instskip(NEXT) | instid1(VALU_DEP_1)
	v_fma_f64 v[1:2], v[3:4], v[7:8], v[1:2]
	v_div_scale_f64 v[3:4], null, v[1:2], v[1:2], 1.0
	s_delay_alu instid0(VALU_DEP_1) | instskip(SKIP_2) | instid1(VALU_DEP_1)
	v_rcp_f64_e32 v[5:6], v[3:4]
	s_waitcnt_depctr 0xfff
	v_fma_f64 v[12:13], -v[3:4], v[5:6], 1.0
	v_fma_f64 v[5:6], v[5:6], v[12:13], v[5:6]
	s_delay_alu instid0(VALU_DEP_1) | instskip(NEXT) | instid1(VALU_DEP_1)
	v_fma_f64 v[12:13], -v[3:4], v[5:6], 1.0
	v_fma_f64 v[5:6], v[5:6], v[12:13], v[5:6]
	v_div_scale_f64 v[12:13], vcc_lo, 1.0, v[1:2], 1.0
	s_delay_alu instid0(VALU_DEP_1) | instskip(NEXT) | instid1(VALU_DEP_1)
	v_mul_f64 v[14:15], v[12:13], v[5:6]
	v_fma_f64 v[3:4], -v[3:4], v[14:15], v[12:13]
	s_delay_alu instid0(VALU_DEP_1) | instskip(NEXT) | instid1(VALU_DEP_1)
	v_div_fmas_f64 v[3:4], v[3:4], v[5:6], v[14:15]
	v_div_fixup_f64 v[5:6], v[3:4], v[1:2], 1.0
	s_delay_alu instid0(VALU_DEP_1)
	v_mul_f64 v[7:8], v[7:8], -v[5:6]
.LBB14_38:
	s_or_b32 exec_lo, exec_lo, s4
.LBB14_39:
	s_delay_alu instid0(SALU_CYCLE_1)
	s_or_b32 exec_lo, exec_lo, s6
	s_branch .LBB14_41
.LBB14_40:
	v_mov_b32_e32 v5, 0
	v_dual_mov_b32 v6, 0x3ff00000 :: v_dual_mov_b32 v7, 0
	v_mov_b32_e32 v8, 0
.LBB14_41:
	ds_store_b128 v10, v[5:8]
.LBB14_42:
	s_or_b32 exec_lo, exec_lo, s5
	s_waitcnt lgkmcnt(0)
	s_barrier
	buffer_gl0_inv
	s_and_saveexec_b32 s4, s3
	s_cbranch_execz .LBB14_54
; %bb.43:
	s_add_i32 s5, s14, 1
	v_lshlrev_b32_e32 v1, 4, v9
	v_mul_i32_i24_e32 v2, s5, v9
	s_lshl_b32 s5, s14, 4
	v_add_nc_u32_e32 v5, 16, v11
	s_add_i32 s6, s5, 16
	v_add_nc_u32_e32 v6, v11, v1
	v_lshl_add_u32 v7, v2, 4, v11
	v_add3_u32 v8, v1, s5, v11
	s_mov_b32 s7, 0
	s_branch .LBB14_45
.LBB14_44:                              ;   in Loop: Header=BB14_45 Depth=1
	s_set_inst_prefetch_distance 0x2
	v_add_nc_u32_e32 v5, s6, v5
	v_add_nc_u32_e32 v8, s5, v8
	s_cmp_eq_u32 s7, s14
	s_cbranch_scc1 .LBB14_54
.LBB14_45:                              ; =>This Loop Header: Depth=1
                                        ;     Child Loop BB14_50 Depth 2
	v_mov_b32_e32 v1, 0
	v_mov_b32_e32 v2, 0
	s_mul_i32 s9, s7, s14
	s_mov_b32 s10, exec_lo
	s_delay_alu instid0(VALU_DEP_1)
	v_dual_mov_b32 v4, v2 :: v_dual_mov_b32 v3, v1
	v_cmpx_lt_i32_e64 s7, v9
	s_cbranch_execz .LBB14_47
; %bb.46:                               ;   in Loop: Header=BB14_45 Depth=1
	s_lshl_b32 s11, s9, 4
	s_lshl_b32 s12, s7, 4
	v_add_nc_u32_e32 v10, s11, v6
	v_add3_u32 v1, s11, s12, v11
	ds_load_b128 v[1:4], v1
	ds_load_b128 v[12:15], v10
	s_waitcnt lgkmcnt(0)
	v_mul_f64 v[16:17], v[3:4], v[14:15]
	v_mul_f64 v[14:15], v[1:2], v[14:15]
	s_delay_alu instid0(VALU_DEP_2) | instskip(NEXT) | instid1(VALU_DEP_2)
	v_fma_f64 v[1:2], v[1:2], v[12:13], -v[16:17]
	v_fma_f64 v[3:4], v[3:4], v[12:13], v[14:15]
	s_delay_alu instid0(VALU_DEP_2) | instskip(NEXT) | instid1(VALU_DEP_2)
	v_add_f64 v[1:2], v[1:2], 0
	v_add_f64 v[3:4], v[3:4], 0
.LBB14_47:                              ;   in Loop: Header=BB14_45 Depth=1
	s_or_b32 exec_lo, exec_lo, s10
	s_add_i32 s7, s7, 1
	s_delay_alu instid0(SALU_CYCLE_1)
	s_cmp_ge_u32 s7, s14
	s_cbranch_scc1 .LBB14_44
; %bb.48:                               ;   in Loop: Header=BB14_45 Depth=1
	v_lshl_add_u32 v10, s9, 4, v6
	v_dual_mov_b32 v12, v8 :: v_dual_mov_b32 v13, v5
	s_mov_b32 s9, s7
	s_set_inst_prefetch_distance 0x1
	s_branch .LBB14_50
	.p2align	6
.LBB14_49:                              ;   in Loop: Header=BB14_50 Depth=2
	s_or_b32 exec_lo, exec_lo, s10
	v_add_nc_u32_e32 v13, 16, v13
	v_add_nc_u32_e32 v12, s5, v12
	s_add_i32 s9, s9, 1
	s_delay_alu instid0(SALU_CYCLE_1)
	s_cmp_ge_u32 s9, s14
	s_cbranch_scc1 .LBB14_44
.LBB14_50:                              ;   Parent Loop BB14_45 Depth=1
                                        ; =>  This Inner Loop Header: Depth=2
	s_mov_b32 s10, exec_lo
	v_cmpx_eq_u32_e64 s9, v9
	s_cbranch_execz .LBB14_52
; %bb.51:                               ;   in Loop: Header=BB14_50 Depth=2
	ds_load_b128 v[14:17], v7
	v_add_f64 v[18:19], -v[1:2], 0
	s_waitcnt lgkmcnt(0)
	v_mul_f64 v[20:21], v[3:4], v[16:17]
	v_mul_f64 v[22:23], v[3:4], v[14:15]
	s_delay_alu instid0(VALU_DEP_2) | instskip(NEXT) | instid1(VALU_DEP_2)
	v_fma_f64 v[14:15], v[18:19], v[14:15], v[20:21]
	v_fma_f64 v[16:17], v[18:19], v[16:17], -v[22:23]
	ds_store_b128 v10, v[14:17]
.LBB14_52:                              ;   in Loop: Header=BB14_50 Depth=2
	s_or_b32 exec_lo, exec_lo, s10
	s_delay_alu instid0(SALU_CYCLE_1)
	s_mov_b32 s10, exec_lo
	v_cmpx_lt_i32_e64 s9, v9
	s_cbranch_execz .LBB14_49
; %bb.53:                               ;   in Loop: Header=BB14_50 Depth=2
	ds_load_b128 v[14:17], v13
	ds_load_b128 v[18:21], v12
	s_waitcnt lgkmcnt(0)
	v_mul_f64 v[22:23], v[16:17], v[20:21]
	v_mul_f64 v[20:21], v[14:15], v[20:21]
	s_delay_alu instid0(VALU_DEP_2) | instskip(NEXT) | instid1(VALU_DEP_2)
	v_fma_f64 v[14:15], v[14:15], v[18:19], -v[22:23]
	v_fma_f64 v[16:17], v[16:17], v[18:19], v[20:21]
	s_delay_alu instid0(VALU_DEP_2) | instskip(NEXT) | instid1(VALU_DEP_2)
	v_add_f64 v[1:2], v[1:2], v[14:15]
	v_add_f64 v[3:4], v[3:4], v[16:17]
	s_branch .LBB14_49
.LBB14_54:
	s_or_b32 exec_lo, exec_lo, s4
	s_and_b32 s4, s14, 0xffff
	v_cvt_f32_ubyte0_e32 v3, v0
	v_cvt_f32_u32_e32 v1, s4
	s_mul_i32 s4, s14, s14
	s_cmpk_lg_i32 s8, 0x7a
	v_cmp_gt_u32_e64 s4, s4, v0
	s_cselect_b32 s5, -1, 0
	v_rcp_iflag_f32_e32 v2, v1
	s_mov_b32 s9, 0
	s_waitcnt lgkmcnt(0)
	s_barrier
	buffer_gl0_inv
	v_mul_f32_e32 v2, v3, v2
	s_delay_alu instid0(VALU_DEP_1) | instskip(NEXT) | instid1(VALU_DEP_1)
	v_trunc_f32_e32 v2, v2
	v_fma_f32 v3, -v2, v1, v3
	v_cvt_u32_f32_e32 v2, v2
	s_delay_alu instid0(VALU_DEP_2) | instskip(NEXT) | instid1(VALU_DEP_2)
	v_cmp_ge_f32_e64 vcc_lo, |v3|, v1
	v_add_co_ci_u32_e32 v1, vcc_lo, 0, v2, vcc_lo
	s_and_b32 vcc_lo, exec_lo, s5
	s_delay_alu instid0(VALU_DEP_1) | instskip(SKIP_1) | instid1(VALU_DEP_2)
	v_mul_lo_u16 v2, v1, s14
	v_and_b32_e32 v8, 0xffff, v1
	v_sub_nc_u16 v2, v0, v2
	s_delay_alu instid0(VALU_DEP_1)
	v_and_b32_e32 v7, 0xffff, v2
	s_cbranch_vccz .LBB14_65
; %bb.55:
	s_mov_b32 s6, 0
                                        ; implicit-def: $vgpr2_vgpr3
                                        ; implicit-def: $vgpr4
	s_and_saveexec_b32 s7, s4
	s_cbranch_execz .LBB14_66
; %bb.56:
	v_dual_mov_b32 v0, 0 :: v_dual_mov_b32 v5, 0
	v_dual_mov_b32 v1, 0 :: v_dual_add_nc_u32 v6, 1, v8
	v_lshlrev_b32_e32 v4, 8, v8
	s_mov_b32 s8, exec_lo
	s_delay_alu instid0(VALU_DEP_2)
	v_dual_mov_b32 v3, v1 :: v_dual_mov_b32 v2, v0
	v_cmpx_lt_u16_e32 2, v8
	s_cbranch_execz .LBB14_60
; %bb.57:
	v_dual_mov_b32 v2, 0 :: v_dual_and_b32 v5, 0x7fc, v6
	v_dual_mov_b32 v3, 0 :: v_dual_lshlrev_b32 v10, 4, v7
	v_sub_nc_u32_e32 v12, 0x3fc0, v4
	s_delay_alu instid0(VALU_DEP_3) | instskip(SKIP_1) | instid1(VALU_DEP_3)
	v_mov_b32_e32 v0, v2
	s_mov_b32 s10, 0
	v_mov_b32_e32 v1, v3
.LBB14_58:                              ; =>This Inner Loop Header: Depth=1
	ds_load_b128 v[13:16], v12 offset:48
	ds_load_b128 v[17:20], v10
	ds_load_b128 v[21:24], v12 offset:32
	ds_load_b128 v[25:28], v10 offset:256
	s_add_i32 s10, s10, 4
	s_delay_alu instid0(SALU_CYCLE_1)
	v_cmp_eq_u32_e32 vcc_lo, s10, v5
	s_or_b32 s9, vcc_lo, s9
	s_waitcnt lgkmcnt(2)
	v_mul_f64 v[29:30], v[15:16], v[19:20]
	v_mul_f64 v[19:20], v[13:14], v[19:20]
	s_waitcnt lgkmcnt(0)
	v_mul_f64 v[35:36], v[23:24], v[27:28]
	v_mul_f64 v[37:38], v[21:22], v[27:28]
	s_delay_alu instid0(VALU_DEP_4) | instskip(NEXT) | instid1(VALU_DEP_4)
	v_fma_f64 v[39:40], v[13:14], v[17:18], -v[29:30]
	v_fma_f64 v[41:42], v[15:16], v[17:18], v[19:20]
	ds_load_b128 v[13:16], v12 offset:16
	ds_load_b128 v[17:20], v10 offset:512
	ds_load_b128 v[27:30], v12
	ds_load_b128 v[31:34], v10 offset:768
	v_fma_f64 v[21:22], v[21:22], v[25:26], -v[35:36]
	v_fma_f64 v[23:24], v[23:24], v[25:26], v[37:38]
	v_add_nc_u32_e32 v10, 0x400, v10
	v_subrev_nc_u32_e32 v12, 64, v12
	s_waitcnt lgkmcnt(2)
	v_mul_f64 v[43:44], v[15:16], v[19:20]
	v_mul_f64 v[19:20], v[13:14], v[19:20]
	s_waitcnt lgkmcnt(0)
	v_mul_f64 v[25:26], v[29:30], v[33:34]
	v_mul_f64 v[33:34], v[27:28], v[33:34]
	v_add_f64 v[0:1], v[0:1], v[39:40]
	v_add_f64 v[2:3], v[2:3], v[41:42]
	v_fma_f64 v[13:14], v[13:14], v[17:18], -v[43:44]
	v_fma_f64 v[15:16], v[15:16], v[17:18], v[19:20]
	v_fma_f64 v[17:18], v[27:28], v[31:32], -v[25:26]
	v_fma_f64 v[19:20], v[29:30], v[31:32], v[33:34]
	v_add_f64 v[0:1], v[0:1], v[21:22]
	v_add_f64 v[2:3], v[2:3], v[23:24]
	s_delay_alu instid0(VALU_DEP_2) | instskip(NEXT) | instid1(VALU_DEP_2)
	v_add_f64 v[0:1], v[0:1], v[13:14]
	v_add_f64 v[2:3], v[2:3], v[15:16]
	s_delay_alu instid0(VALU_DEP_2) | instskip(NEXT) | instid1(VALU_DEP_2)
	v_add_f64 v[0:1], v[0:1], v[17:18]
	v_add_f64 v[2:3], v[2:3], v[19:20]
	s_and_not1_b32 exec_lo, exec_lo, s9
	s_cbranch_execnz .LBB14_58
; %bb.59:
	s_or_b32 exec_lo, exec_lo, s9
.LBB14_60:
	s_delay_alu instid0(SALU_CYCLE_1) | instskip(SKIP_3) | instid1(VALU_DEP_1)
	s_or_b32 exec_lo, exec_lo, s8
	v_and_b32_e32 v6, 3, v6
	s_mov_b32 s9, 0
	s_mov_b32 s8, exec_lo
	v_cmpx_ne_u32_e32 0, v6
	s_cbranch_execz .LBB14_64
; %bb.61:
	v_lshl_add_u32 v4, v5, 4, v4
	v_lshlrev_b32_e32 v10, 4, v7
	s_delay_alu instid0(VALU_DEP_2) | instskip(NEXT) | instid1(VALU_DEP_2)
	v_sub_nc_u32_e32 v4, 0x3ff0, v4
	v_lshl_add_u32 v5, v5, 8, v10
	.p2align	6
.LBB14_62:                              ; =>This Inner Loop Header: Depth=1
	ds_load_b128 v[12:15], v4
	ds_load_b128 v[16:19], v5
	v_add_nc_u32_e32 v6, -1, v6
	v_add_nc_u32_e32 v4, -16, v4
	v_add_nc_u32_e32 v5, 0x100, v5
	s_delay_alu instid0(VALU_DEP_3) | instskip(SKIP_4) | instid1(VALU_DEP_2)
	v_cmp_eq_u32_e32 vcc_lo, 0, v6
	s_or_b32 s9, vcc_lo, s9
	s_waitcnt lgkmcnt(0)
	v_mul_f64 v[20:21], v[14:15], v[18:19]
	v_mul_f64 v[18:19], v[12:13], v[18:19]
	v_fma_f64 v[12:13], v[12:13], v[16:17], -v[20:21]
	s_delay_alu instid0(VALU_DEP_2) | instskip(NEXT) | instid1(VALU_DEP_2)
	v_fma_f64 v[14:15], v[14:15], v[16:17], v[18:19]
	v_add_f64 v[0:1], v[0:1], v[12:13]
	s_delay_alu instid0(VALU_DEP_2)
	v_add_f64 v[2:3], v[2:3], v[14:15]
	s_and_not1_b32 exec_lo, exec_lo, s9
	s_cbranch_execnz .LBB14_62
; %bb.63:
	s_or_b32 exec_lo, exec_lo, s9
.LBB14_64:
	s_delay_alu instid0(SALU_CYCLE_1) | instskip(SKIP_3) | instid1(SALU_CYCLE_1)
	s_or_b32 exec_lo, exec_lo, s8
	v_lshlrev_b32_e32 v4, 4, v8
	s_mov_b32 s9, exec_lo
	s_or_b32 exec_lo, exec_lo, s7
	s_and_b32 vcc_lo, exec_lo, s6
	s_cbranch_vccnz .LBB14_67
	s_branch .LBB14_74
.LBB14_65:
                                        ; implicit-def: $vgpr2_vgpr3
                                        ; implicit-def: $vgpr4
	s_cbranch_execnz .LBB14_67
	s_branch .LBB14_74
.LBB14_66:
	s_or_b32 exec_lo, exec_lo, s7
	s_delay_alu instid0(SALU_CYCLE_1)
	s_and_b32 vcc_lo, exec_lo, s6
	s_cbranch_vccz .LBB14_74
.LBB14_67:
                                        ; implicit-def: $vgpr2_vgpr3
                                        ; implicit-def: $vgpr4
	s_and_saveexec_b32 s6, s4
	s_cbranch_execz .LBB14_73
; %bb.68:
	v_mov_b32_e32 v2, 0
	v_mov_b32_e32 v3, 0
	s_delay_alu instid0(VALU_DEP_2) | instskip(SKIP_1) | instid1(VALU_DEP_2)
	v_mov_b32_e32 v0, v2
	s_mov_b32 s7, exec_lo
	v_mov_b32_e32 v1, v3
	v_cmpx_gt_u16_e32 16, v8
	s_cbranch_execz .LBB14_72
; %bb.69:
	v_lshlrev_b32_e32 v0, 4, v7
	v_mov_b32_e32 v2, 0
	v_mov_b32_e32 v3, 0
	s_movk_i32 s8, 0x110
	v_add_nc_u32_e32 v4, -1, v8
	v_lshl_add_u32 v5, v8, 8, v0
	s_delay_alu instid0(VALU_DEP_3)
	v_dual_mov_b32 v0, v2 :: v_dual_mov_b32 v1, v3
	v_mad_u32_u24 v6, v8, s8, 0x2000
	s_mov_b32 s8, 0
	.p2align	6
.LBB14_70:                              ; =>This Inner Loop Header: Depth=1
	ds_load_b128 v[12:15], v6
	ds_load_b128 v[16:19], v5
	v_add_nc_u32_e32 v4, 1, v4
	v_add_nc_u32_e32 v5, 0x100, v5
	;; [unrolled: 1-line block ×3, first 2 shown]
	s_delay_alu instid0(VALU_DEP_3) | instskip(SKIP_4) | instid1(VALU_DEP_2)
	v_cmp_lt_u32_e32 vcc_lo, 14, v4
	s_or_b32 s8, vcc_lo, s8
	s_waitcnt lgkmcnt(0)
	v_mul_f64 v[20:21], v[14:15], v[18:19]
	v_mul_f64 v[18:19], v[12:13], v[18:19]
	v_fma_f64 v[12:13], v[12:13], v[16:17], -v[20:21]
	s_delay_alu instid0(VALU_DEP_2) | instskip(NEXT) | instid1(VALU_DEP_2)
	v_fma_f64 v[14:15], v[14:15], v[16:17], v[18:19]
	v_add_f64 v[0:1], v[0:1], v[12:13]
	s_delay_alu instid0(VALU_DEP_2)
	v_add_f64 v[2:3], v[2:3], v[14:15]
	s_and_not1_b32 exec_lo, exec_lo, s8
	s_cbranch_execnz .LBB14_70
; %bb.71:
	s_or_b32 exec_lo, exec_lo, s8
.LBB14_72:
	s_delay_alu instid0(SALU_CYCLE_1)
	s_or_b32 exec_lo, exec_lo, s7
	v_lshlrev_b32_e32 v4, 4, v8
	s_or_b32 s9, s9, exec_lo
.LBB14_73:
	s_or_b32 exec_lo, exec_lo, s6
.LBB14_74:
	s_and_saveexec_b32 s6, s9
	s_cbranch_execz .LBB14_76
; %bb.75:
	v_add_lshl_u32 v4, v4, v7, 4
	ds_store_b128 v4, v[0:3] offset:4096
.LBB14_76:
	s_or_b32 exec_lo, exec_lo, s6
	s_clause 0x1
	s_load_b128 s[16:19], s[0:1], 0x50
	s_load_b32 s6, s[0:1], 0x48
	s_waitcnt lgkmcnt(0)
	s_barrier
	buffer_gl0_inv
	s_mul_i32 s1, s15, s17
	s_mul_hi_u32 s7, s15, s16
	s_mul_i32 s0, s15, s16
	s_add_i32 s1, s7, s1
	s_ashr_i32 s7, s6, 31
	s_lshl_b64 s[8:9], s[0:1], 4
	s_mul_i32 s16, s29, s19
	s_add_u32 s10, s20, s8
	s_addc_u32 s11, s21, s9
	s_lshl_b64 s[0:1], s[22:23], 4
	s_mul_hi_u32 s17, s29, s18
	s_add_u32 s13, s10, s0
	s_addc_u32 s15, s11, s1
	s_lshl_b64 s[10:11], s[6:7], 5
	s_delay_alu instid0(SALU_CYCLE_1)
	s_add_u32 s10, s10, 32
	s_addc_u32 s11, s11, 0
	s_mul_hi_u32 s12, s10, s30
	s_mul_i32 s11, s11, s30
	s_mul_i32 s10, s10, s30
	s_add_i32 s11, s12, s11
	s_mul_i32 s12, s29, s18
	s_lshl_b64 s[10:11], s[10:11], 4
	s_delay_alu instid0(SALU_CYCLE_1) | instskip(SKIP_2) | instid1(SALU_CYCLE_1)
	s_add_u32 s18, s13, s10
	s_addc_u32 s19, s15, s11
	s_add_i32 s13, s17, s16
	s_lshl_b64 s[12:13], s[12:13], 4
	s_delay_alu instid0(SALU_CYCLE_1)
	s_add_u32 s15, s18, s12
	s_addc_u32 s16, s19, s13
	s_and_b32 vcc_lo, exec_lo, s5
	s_cbranch_vccz .LBB14_82
; %bb.77:
	s_mov_b32 s18, 0
	s_mov_b32 s17, 0
                                        ; implicit-def: $vgpr0_vgpr1
                                        ; implicit-def: $vgpr4_vgpr5
	s_and_saveexec_b32 s19, s4
	s_cbranch_execz .LBB14_81
; %bb.78:
	v_sub_nc_u32_e32 v0, s14, v7
	v_dual_mov_b32 v2, 0 :: v_dual_add_nc_u32 v5, -1, v7
	v_dual_mov_b32 v3, 0 :: v_dual_lshlrev_b32 v4, 4, v7
	s_delay_alu instid0(VALU_DEP_3) | instskip(SKIP_2) | instid1(SALU_CYCLE_1)
	v_mul_i32_i24_e32 v0, s14, v0
	v_mad_u32_u24 v1, s14, v8, v7
	s_lshl_b32 s22, s14, 4
	s_sub_i32 s22, 0, s22
	s_delay_alu instid0(VALU_DEP_2) | instskip(NEXT) | instid1(VALU_DEP_2)
	v_lshlrev_b32_e32 v0, 4, v0
	v_lshl_add_u32 v6, v1, 4, 0x1000
	s_delay_alu instid0(VALU_DEP_2) | instskip(NEXT) | instid1(VALU_DEP_1)
	v_sub_nc_u32_e32 v0, v0, v4
	v_add_nc_u32_e32 v10, 0x1ff0, v0
	v_dual_mov_b32 v0, v2 :: v_dual_mov_b32 v1, v3
	.p2align	6
.LBB14_79:                              ; =>This Inner Loop Header: Depth=1
	ds_load_b128 v[12:15], v10
	ds_load_b128 v[16:19], v6
	v_add_nc_u32_e32 v5, 1, v5
	v_add_nc_u32_e32 v6, 16, v6
	v_add_nc_u32_e32 v10, s22, v10
	s_delay_alu instid0(VALU_DEP_3) | instskip(SKIP_4) | instid1(VALU_DEP_2)
	v_cmp_lt_u32_e32 vcc_lo, 14, v5
	s_or_b32 s17, vcc_lo, s17
	s_waitcnt lgkmcnt(0)
	v_mul_f64 v[20:21], v[12:13], v[16:17]
	v_mul_f64 v[12:13], v[12:13], v[18:19]
	v_fma_f64 v[18:19], v[14:15], v[18:19], -v[20:21]
	s_delay_alu instid0(VALU_DEP_2) | instskip(NEXT) | instid1(VALU_DEP_2)
	v_fma_f64 v[12:13], v[16:17], -v[14:15], -v[12:13]
	v_add_f64 v[2:3], v[2:3], v[18:19]
	s_delay_alu instid0(VALU_DEP_2)
	v_add_f64 v[0:1], v[0:1], v[12:13]
	s_and_not1_b32 exec_lo, exec_lo, s17
	s_cbranch_execnz .LBB14_79
; %bb.80:
	s_or_b32 exec_lo, exec_lo, s17
	v_mad_i64_i32 v[5:6], null, v8, s6, 0
	s_mul_hi_i32 s23, s14, s6
	s_mul_i32 s22, s14, s6
	s_mov_b32 s17, exec_lo
	s_lshl_b64 s[22:23], s[22:23], 4
	s_delay_alu instid0(SALU_CYCLE_1) | instskip(NEXT) | instid1(VALU_DEP_1)
	s_add_u32 s22, s15, s22
	v_lshlrev_b64 v[5:6], 4, v[5:6]
	s_addc_u32 s23, s16, s23
	v_add_co_u32 v4, s22, s22, v4
	s_delay_alu instid0(VALU_DEP_1) | instskip(NEXT) | instid1(VALU_DEP_2)
	v_add_co_ci_u32_e64 v10, null, s23, 0, s22
	v_add_co_u32 v4, vcc_lo, v4, v5
	s_delay_alu instid0(VALU_DEP_2)
	v_add_co_ci_u32_e32 v5, vcc_lo, v10, v6, vcc_lo
	global_store_b64 v[4:5], v[2:3], off
.LBB14_81:
	s_or_b32 exec_lo, exec_lo, s19
	s_delay_alu instid0(SALU_CYCLE_1)
	s_and_b32 vcc_lo, exec_lo, s18
	s_cbranch_vccnz .LBB14_83
	s_branch .LBB14_94
.LBB14_82:
	s_mov_b32 s17, 0
                                        ; implicit-def: $vgpr0_vgpr1
                                        ; implicit-def: $vgpr4_vgpr5
	s_cbranch_execz .LBB14_94
.LBB14_83:
                                        ; implicit-def: $vgpr0_vgpr1
                                        ; implicit-def: $vgpr4_vgpr5
	s_and_saveexec_b32 s18, s4
	s_cbranch_execz .LBB14_93
; %bb.84:
	v_dual_mov_b32 v0, 0 :: v_dual_add_nc_u32 v13, 1, v7
	v_dual_mov_b32 v1, 0 :: v_dual_mov_b32 v12, 0
	v_mul_u32_u24_e32 v10, s14, v8
	s_mov_b32 s4, exec_lo
	s_delay_alu instid0(VALU_DEP_2)
	v_dual_mov_b32 v3, v1 :: v_dual_mov_b32 v2, v0
	v_cmpx_lt_u16_e32 2, v7
	s_cbranch_execz .LBB14_88
; %bb.85:
	v_lshl_add_u32 v4, v7, 4, 0x3000
	v_mov_b32_e32 v2, 0
	v_dual_mov_b32 v3, 0 :: v_dual_and_b32 v12, 60, v13
	v_lshl_add_u32 v14, v10, 4, 0x1000
	s_delay_alu instid0(VALU_DEP_4)
	v_mad_u64_u32 v[5:6], null, s14, 48, v[4:5]
	v_lshl_add_u32 v6, s14, 4, v4
	v_lshl_add_u32 v15, s14, 5, v4
	v_dual_mov_b32 v0, v2 :: v_dual_mov_b32 v1, v3
	s_lshl_b32 s22, s14, 6
	s_mov_b32 s19, 0
	s_mov_b32 s23, 0
.LBB14_86:                              ; =>This Inner Loop Header: Depth=1
	ds_load_b128 v[16:19], v4
	ds_load_b128 v[20:23], v14
	ds_load_b128 v[24:27], v14 offset:16
	ds_load_b128 v[28:31], v5
	ds_load_b128 v[32:35], v6
	;; [unrolled: 1-line block ×3, first 2 shown]
	s_add_i32 s23, s23, 4
	v_add_nc_u32_e32 v6, s22, v6
	v_cmp_eq_u32_e32 vcc_lo, s23, v12
	v_add_nc_u32_e32 v15, s22, v15
	v_add_nc_u32_e32 v5, s22, v5
	;; [unrolled: 1-line block ×3, first 2 shown]
	s_or_b32 s19, vcc_lo, s19
	s_waitcnt lgkmcnt(4)
	v_mul_f64 v[40:41], v[16:17], v[20:21]
	v_mul_f64 v[16:17], v[16:17], v[22:23]
	s_waitcnt lgkmcnt(1)
	v_mul_f64 v[42:43], v[32:33], v[24:25]
	v_mul_f64 v[32:33], v[32:33], v[26:27]
	s_delay_alu instid0(VALU_DEP_4) | instskip(NEXT) | instid1(VALU_DEP_4)
	v_fma_f64 v[40:41], v[18:19], v[22:23], -v[40:41]
	v_fma_f64 v[44:45], v[20:21], -v[18:19], -v[16:17]
	ds_load_b128 v[16:19], v14 offset:32
	ds_load_b128 v[20:23], v14 offset:48
	v_fma_f64 v[26:27], v[34:35], v[26:27], -v[42:43]
	v_fma_f64 v[24:25], v[24:25], -v[34:35], -v[32:33]
	v_add_nc_u32_e32 v14, 64, v14
	s_waitcnt lgkmcnt(1)
	v_mul_f64 v[46:47], v[36:37], v[16:17]
	v_mul_f64 v[36:37], v[36:37], v[18:19]
	s_waitcnt lgkmcnt(0)
	v_mul_f64 v[32:33], v[28:29], v[20:21]
	v_mul_f64 v[28:29], v[28:29], v[22:23]
	v_add_f64 v[2:3], v[2:3], v[40:41]
	v_add_f64 v[0:1], v[0:1], v[44:45]
	v_fma_f64 v[18:19], v[38:39], v[18:19], -v[46:47]
	v_fma_f64 v[16:17], v[16:17], -v[38:39], -v[36:37]
	v_fma_f64 v[22:23], v[30:31], v[22:23], -v[32:33]
	v_fma_f64 v[20:21], v[20:21], -v[30:31], -v[28:29]
	v_add_f64 v[2:3], v[2:3], v[26:27]
	v_add_f64 v[0:1], v[0:1], v[24:25]
	s_delay_alu instid0(VALU_DEP_2) | instskip(NEXT) | instid1(VALU_DEP_2)
	v_add_f64 v[2:3], v[2:3], v[18:19]
	v_add_f64 v[0:1], v[0:1], v[16:17]
	s_delay_alu instid0(VALU_DEP_2) | instskip(NEXT) | instid1(VALU_DEP_2)
	v_add_f64 v[2:3], v[2:3], v[22:23]
	v_add_f64 v[0:1], v[0:1], v[20:21]
	s_and_not1_b32 exec_lo, exec_lo, s19
	s_cbranch_execnz .LBB14_86
; %bb.87:
	s_or_b32 exec_lo, exec_lo, s19
.LBB14_88:
	s_delay_alu instid0(SALU_CYCLE_1) | instskip(SKIP_3) | instid1(VALU_DEP_1)
	s_or_b32 exec_lo, exec_lo, s4
	v_and_b32_e32 v4, 3, v13
	s_mov_b32 s19, 0
	s_mov_b32 s4, exec_lo
	v_cmpx_ne_u32_e32 0, v4
	s_cbranch_execz .LBB14_92
; %bb.89:
	v_add_nc_u32_e32 v5, v10, v12
	v_mad_u32_u24 v6, v12, s14, v7
	s_lshl_b32 s22, s14, 4
	s_delay_alu instid0(VALU_DEP_2) | instskip(NEXT) | instid1(VALU_DEP_2)
	v_lshl_add_u32 v5, v5, 4, 0x1000
	v_lshl_add_u32 v6, v6, 4, 0x3000
	.p2align	6
.LBB14_90:                              ; =>This Inner Loop Header: Depth=1
	ds_load_b128 v[12:15], v6
	ds_load_b128 v[16:19], v5
	v_add_nc_u32_e32 v4, -1, v4
	v_add_nc_u32_e32 v5, 16, v5
	v_add_nc_u32_e32 v6, s22, v6
	s_delay_alu instid0(VALU_DEP_3) | instskip(SKIP_4) | instid1(VALU_DEP_2)
	v_cmp_eq_u32_e32 vcc_lo, 0, v4
	s_or_b32 s19, vcc_lo, s19
	s_waitcnt lgkmcnt(0)
	v_mul_f64 v[20:21], v[12:13], v[16:17]
	v_mul_f64 v[12:13], v[12:13], v[18:19]
	v_fma_f64 v[18:19], v[14:15], v[18:19], -v[20:21]
	s_delay_alu instid0(VALU_DEP_2) | instskip(NEXT) | instid1(VALU_DEP_2)
	v_fma_f64 v[12:13], v[16:17], -v[14:15], -v[12:13]
	v_add_f64 v[2:3], v[2:3], v[18:19]
	s_delay_alu instid0(VALU_DEP_2)
	v_add_f64 v[0:1], v[0:1], v[12:13]
	s_and_not1_b32 exec_lo, exec_lo, s19
	s_cbranch_execnz .LBB14_90
; %bb.91:
	s_or_b32 exec_lo, exec_lo, s19
.LBB14_92:
	s_delay_alu instid0(SALU_CYCLE_1) | instskip(SKIP_3) | instid1(VALU_DEP_2)
	s_or_b32 exec_lo, exec_lo, s4
	v_mad_i64_i32 v[4:5], null, v8, s6, 0
	v_add_lshl_u32 v6, s14, v7, 4
	s_or_b32 s17, s17, exec_lo
	v_lshlrev_b64 v[4:5], 4, v[4:5]
	s_delay_alu instid0(VALU_DEP_1) | instskip(NEXT) | instid1(VALU_DEP_2)
	v_add_co_u32 v4, vcc_lo, s15, v4
	v_add_co_ci_u32_e32 v5, vcc_lo, s16, v5, vcc_lo
	s_delay_alu instid0(VALU_DEP_2) | instskip(NEXT) | instid1(VALU_DEP_2)
	v_add_co_u32 v4, vcc_lo, v4, v6
	v_add_co_ci_u32_e32 v5, vcc_lo, 0, v5, vcc_lo
	global_store_b64 v[4:5], v[2:3], off
.LBB14_93:
	s_or_b32 exec_lo, exec_lo, s18
.LBB14_94:
	s_and_saveexec_b32 s4, s17
	s_cbranch_execnz .LBB14_96
; %bb.95:
	s_or_b32 exec_lo, exec_lo, s4
	s_and_saveexec_b32 s4, s3
	s_cbranch_execnz .LBB14_97
	s_branch .LBB14_108
.LBB14_96:
	global_store_b64 v[4:5], v[0:1], off offset:8
	s_or_b32 exec_lo, exec_lo, s4
	s_and_saveexec_b32 s4, s3
	s_cbranch_execz .LBB14_108
.LBB14_97:
	v_mov_b32_e32 v0, 0
	v_mov_b32_e32 v1, 0
	s_and_saveexec_b32 s3, s2
	s_cbranch_execnz .LBB14_100
; %bb.98:
	s_or_b32 exec_lo, exec_lo, s3
	s_delay_alu instid0(SALU_CYCLE_1)
	s_and_b32 vcc_lo, exec_lo, s5
	s_mov_b32 s2, -1
	s_cbranch_vccnz .LBB14_101
.LBB14_99:
	s_and_not1_b32 vcc_lo, exec_lo, s2
	s_cbranch_vccz .LBB14_105
	s_branch .LBB14_108
.LBB14_100:
	s_add_u32 s2, s6, 1
	s_addc_u32 s4, s7, 0
	s_mul_hi_u32 s17, s2, s14
	s_mul_i32 s4, s4, s14
	s_mul_i32 s18, s2, s14
	s_add_i32 s19, s17, s4
	s_delay_alu instid0(SALU_CYCLE_1) | instskip(SKIP_1) | instid1(SALU_CYCLE_1)
	v_dual_mov_b32 v0, s18 :: v_dual_mov_b32 v1, s19
	s_or_b32 exec_lo, exec_lo, s3
	s_and_b32 vcc_lo, exec_lo, s5
	s_mov_b32 s2, -1
	s_cbranch_vccz .LBB14_99
.LBB14_101:
	s_mov_b32 s2, exec_lo
	v_cmpx_gt_i32_e64 s14, v9
	s_cbranch_execz .LBB14_104
; %bb.102:
	s_cmp_lt_u32 s28, 16
	v_xad_u32 v2, v9, -1, s14
	s_cselect_b32 s3, s28, 16
	s_cselect_b32 s4, 0, 0
	s_add_u32 s3, s3, -1
	s_addc_u32 s4, s4, -1
	s_mul_i32 s5, s3, s7
	s_mul_hi_u32 s17, s3, s6
	s_mul_i32 s4, s4, s6
	s_add_i32 s5, s17, s5
	v_lshl_add_u32 v4, v2, 4, v11
	s_add_i32 s5, s5, s4
	s_mul_i32 s4, s3, s6
	v_ashrrev_i32_e32 v10, 31, v9
	s_lshl_b64 s[4:5], s[4:5], 4
	v_lshlrev_b64 v[2:3], 4, v[0:1]
	s_add_u32 s3, s4, s12
	s_addc_u32 s4, s5, s13
	s_add_u32 s3, s3, s8
	s_addc_u32 s4, s4, s9
	;; [unrolled: 2-line block ×3, first 2 shown]
	s_add_u32 s0, s0, s3
	v_lshlrev_b64 v[5:6], 4, v[9:10]
	s_addc_u32 s1, s1, s4
	v_add_co_u32 v2, vcc_lo, s0, v2
	v_add_co_ci_u32_e32 v3, vcc_lo, s1, v3, vcc_lo
	s_lshl_b64 s[4:5], s[6:7], 4
	s_delay_alu instid0(VALU_DEP_2) | instskip(NEXT) | instid1(VALU_DEP_2)
	v_add_co_u32 v2, vcc_lo, v2, v5
	v_add_co_ci_u32_e32 v3, vcc_lo, v3, v6, vcc_lo
	s_sub_u32 s3, 0, s4
	s_delay_alu instid0(VALU_DEP_2) | instskip(NEXT) | instid1(VALU_DEP_2)
	v_add_co_u32 v2, vcc_lo, s20, v2
	v_add_co_ci_u32_e32 v3, vcc_lo, s21, v3, vcc_lo
	s_mov_b32 s1, 0
	s_subb_u32 s4, 0, s5
	s_lshl_b32 s5, s14, 4
	s_mov_b32 s8, s14
.LBB14_103:                             ; =>This Inner Loop Header: Depth=1
	ds_load_2addr_b64 v[5:8], v4 offset1:1
	s_add_i32 s8, s8, -1
	v_add_nc_u32_e32 v4, s5, v4
	v_cmp_le_i32_e32 vcc_lo, s8, v9
	s_or_b32 s1, vcc_lo, s1
	s_waitcnt lgkmcnt(0)
	global_store_b128 v[2:3], v[5:8], off
	v_add_co_u32 v2, s0, v2, s3
	s_delay_alu instid0(VALU_DEP_1)
	v_add_co_ci_u32_e64 v3, s0, s4, v3, s0
	s_and_not1_b32 exec_lo, exec_lo, s1
	s_cbranch_execnz .LBB14_103
.LBB14_104:
	s_or_b32 exec_lo, exec_lo, s2
	s_cbranch_execnz .LBB14_108
.LBB14_105:
	v_cmp_lt_i32_e32 vcc_lo, -1, v9
	s_and_b32 exec_lo, exec_lo, vcc_lo
	s_cbranch_execz .LBB14_108
; %bb.106:
	v_mov_b32_e32 v10, 0
	v_lshlrev_b64 v[0:1], 4, v[0:1]
	v_lshl_add_u32 v2, v9, 4, v11
	s_lshl_b64 s[2:3], s[6:7], 4
	s_lshl_b32 s1, s14, 4
	v_lshlrev_b64 v[3:4], 4, v[9:10]
	s_mov_b32 s4, 0
	v_add_co_u32 v0, vcc_lo, s15, v0
	v_add_co_ci_u32_e32 v1, vcc_lo, s16, v1, vcc_lo
	s_delay_alu instid0(VALU_DEP_2) | instskip(SKIP_1) | instid1(VALU_DEP_3)
	v_add_co_u32 v0, vcc_lo, v0, v3
	v_add_nc_u32_e32 v3, 1, v9
	v_add_co_ci_u32_e32 v1, vcc_lo, v1, v4, vcc_lo
.LBB14_107:                             ; =>This Inner Loop Header: Depth=1
	ds_load_2addr_b64 v[4:7], v2 offset1:1
	v_add_nc_u32_e32 v3, -1, v3
	v_add_nc_u32_e32 v2, s1, v2
	s_delay_alu instid0(VALU_DEP_2) | instskip(SKIP_4) | instid1(VALU_DEP_1)
	v_cmp_eq_u32_e32 vcc_lo, 0, v3
	s_or_b32 s4, vcc_lo, s4
	s_waitcnt lgkmcnt(0)
	global_store_b128 v[0:1], v[4:7], off
	v_add_co_u32 v0, s0, v0, s2
	v_add_co_ci_u32_e64 v1, s0, s3, v1, s0
	s_and_not1_b32 exec_lo, exec_lo, s4
	s_cbranch_execnz .LBB14_107
.LBB14_108:
	s_nop 0
	s_sendmsg sendmsg(MSG_DEALLOC_VGPRS)
	s_endpgm
	.section	.rodata,"a",@progbits
	.p2align	6, 0x0
	.amdhsa_kernel _ZL29rocblas_trtri_diagonal_kernelILi16E19rocblas_complex_numIdEPKS1_PS1_Ev13rocblas_fill_17rocblas_diagonal_iT1_lillT2_lilli
		.amdhsa_group_segment_fixed_size 16384
		.amdhsa_private_segment_fixed_size 0
		.amdhsa_kernarg_size 100
		.amdhsa_user_sgpr_count 14
		.amdhsa_user_sgpr_dispatch_ptr 0
		.amdhsa_user_sgpr_queue_ptr 0
		.amdhsa_user_sgpr_kernarg_segment_ptr 1
		.amdhsa_user_sgpr_dispatch_id 0
		.amdhsa_user_sgpr_private_segment_size 0
		.amdhsa_wavefront_size32 1
		.amdhsa_uses_dynamic_stack 0
		.amdhsa_enable_private_segment 0
		.amdhsa_system_sgpr_workgroup_id_x 1
		.amdhsa_system_sgpr_workgroup_id_y 0
		.amdhsa_system_sgpr_workgroup_id_z 1
		.amdhsa_system_sgpr_workgroup_info 0
		.amdhsa_system_vgpr_workitem_id 0
		.amdhsa_next_free_vgpr 48
		.amdhsa_next_free_sgpr 40
		.amdhsa_reserve_vcc 1
		.amdhsa_float_round_mode_32 0
		.amdhsa_float_round_mode_16_64 0
		.amdhsa_float_denorm_mode_32 3
		.amdhsa_float_denorm_mode_16_64 3
		.amdhsa_dx10_clamp 1
		.amdhsa_ieee_mode 1
		.amdhsa_fp16_overflow 0
		.amdhsa_workgroup_processor_mode 1
		.amdhsa_memory_ordered 1
		.amdhsa_forward_progress 0
		.amdhsa_shared_vgpr_count 0
		.amdhsa_exception_fp_ieee_invalid_op 0
		.amdhsa_exception_fp_denorm_src 0
		.amdhsa_exception_fp_ieee_div_zero 0
		.amdhsa_exception_fp_ieee_overflow 0
		.amdhsa_exception_fp_ieee_underflow 0
		.amdhsa_exception_fp_ieee_inexact 0
		.amdhsa_exception_int_div_zero 0
	.end_amdhsa_kernel
	.section	.text._ZL29rocblas_trtri_diagonal_kernelILi16E19rocblas_complex_numIdEPKS1_PS1_Ev13rocblas_fill_17rocblas_diagonal_iT1_lillT2_lilli,"axG",@progbits,_ZL29rocblas_trtri_diagonal_kernelILi16E19rocblas_complex_numIdEPKS1_PS1_Ev13rocblas_fill_17rocblas_diagonal_iT1_lillT2_lilli,comdat
.Lfunc_end14:
	.size	_ZL29rocblas_trtri_diagonal_kernelILi16E19rocblas_complex_numIdEPKS1_PS1_Ev13rocblas_fill_17rocblas_diagonal_iT1_lillT2_lilli, .Lfunc_end14-_ZL29rocblas_trtri_diagonal_kernelILi16E19rocblas_complex_numIdEPKS1_PS1_Ev13rocblas_fill_17rocblas_diagonal_iT1_lillT2_lilli
                                        ; -- End function
	.section	.AMDGPU.csdata,"",@progbits
; Kernel info:
; codeLenInByte = 5528
; NumSgprs: 42
; NumVgprs: 48
; ScratchSize: 0
; MemoryBound: 1
; FloatMode: 240
; IeeeMode: 1
; LDSByteSize: 16384 bytes/workgroup (compile time only)
; SGPRBlocks: 5
; VGPRBlocks: 5
; NumSGPRsForWavesPerEU: 42
; NumVGPRsForWavesPerEU: 48
; Occupancy: 16
; WaveLimiterHint : 0
; COMPUTE_PGM_RSRC2:SCRATCH_EN: 0
; COMPUTE_PGM_RSRC2:USER_SGPR: 14
; COMPUTE_PGM_RSRC2:TRAP_HANDLER: 0
; COMPUTE_PGM_RSRC2:TGID_X_EN: 1
; COMPUTE_PGM_RSRC2:TGID_Y_EN: 0
; COMPUTE_PGM_RSRC2:TGID_Z_EN: 1
; COMPUTE_PGM_RSRC2:TIDIG_COMP_CNT: 0
	.section	.text._ZL30rocblas_trtri_remainder_kernelILi16E19rocblas_complex_numIdEPKS1_PS1_Ev13rocblas_fill_17rocblas_diagonal_iT1_lillT2_lilli,"axG",@progbits,_ZL30rocblas_trtri_remainder_kernelILi16E19rocblas_complex_numIdEPKS1_PS1_Ev13rocblas_fill_17rocblas_diagonal_iT1_lillT2_lilli,comdat
	.globl	_ZL30rocblas_trtri_remainder_kernelILi16E19rocblas_complex_numIdEPKS1_PS1_Ev13rocblas_fill_17rocblas_diagonal_iT1_lillT2_lilli ; -- Begin function _ZL30rocblas_trtri_remainder_kernelILi16E19rocblas_complex_numIdEPKS1_PS1_Ev13rocblas_fill_17rocblas_diagonal_iT1_lillT2_lilli
	.p2align	8
	.type	_ZL30rocblas_trtri_remainder_kernelILi16E19rocblas_complex_numIdEPKS1_PS1_Ev13rocblas_fill_17rocblas_diagonal_iT1_lillT2_lilli,@function
_ZL30rocblas_trtri_remainder_kernelILi16E19rocblas_complex_numIdEPKS1_PS1_Ev13rocblas_fill_17rocblas_diagonal_iT1_lillT2_lilli: ; @_ZL30rocblas_trtri_remainder_kernelILi16E19rocblas_complex_numIdEPKS1_PS1_Ev13rocblas_fill_17rocblas_diagonal_iT1_lillT2_lilli
; %bb.0:
	s_load_b128 s[16:19], s[0:1], 0x0
	s_waitcnt lgkmcnt(0)
	s_cmp_lt_i32 s18, 1
	s_cbranch_scc1 .LBB15_51
; %bb.1:
	s_load_b256 s[4:11], s[0:1], 0x28
	v_cmp_le_u32_e64 s3, s18, v0
	v_cmp_gt_u32_e64 s2, s18, v0
	s_delay_alu instid0(VALU_DEP_1)
	s_and_saveexec_b32 s19, s2
	s_cbranch_execz .LBB15_14
; %bb.2:
	s_clause 0x1
	s_load_b128 s[20:23], s[0:1], 0x10
	s_load_b32 s12, s[0:1], 0x20
	s_waitcnt lgkmcnt(0)
	s_mul_i32 s5, s15, s5
	s_mul_hi_u32 s13, s15, s4
	s_mul_i32 s24, s15, s4
	s_add_i32 s25, s13, s5
	s_mul_i32 s5, s14, s7
	s_mul_hi_u32 s7, s14, s6
	s_mul_i32 s6, s14, s6
	s_add_i32 s7, s7, s5
	s_cmpk_lg_i32 s16, 0x7a
	s_mov_b32 s4, -1
	s_cbranch_scc0 .LBB15_6
; %bb.3:
	s_ashr_i32 s13, s12, 31
	s_lshl_b32 s5, s18, 4
	s_ashr_i32 s4, s18, 31
	s_add_u32 s26, s18, -1
	s_addc_u32 s4, s4, -1
	s_mul_i32 s27, s26, s13
	s_mul_hi_u32 s28, s26, s12
	s_mul_i32 s4, s4, s12
	s_add_i32 s27, s28, s27
	s_mul_i32 s26, s26, s12
	s_add_i32 s27, s27, s4
	s_lshl_b64 s[28:29], s[6:7], 4
	s_lshl_b64 s[26:27], s[26:27], 4
	v_lshlrev_b32_e32 v1, 4, v0
	s_add_u32 s4, s26, s28
	s_addc_u32 s28, s27, s29
	s_lshl_b64 s[26:27], s[24:25], 4
	s_delay_alu instid0(SALU_CYCLE_1)
	s_add_u32 s4, s4, s26
	s_addc_u32 s28, s28, s27
	s_lshl_b64 s[26:27], s[22:23], 4
	v_sub_nc_u32_e32 v2, s5, v1
	s_add_u32 s4, s4, s26
	s_addc_u32 s26, s28, s27
	s_add_u32 s4, s20, s4
	s_addc_u32 s28, s21, s26
	v_add_co_u32 v1, s4, s4, v1
	v_add_nc_u32_e32 v3, -16, v2
	s_lshl_b64 s[26:27], s[12:13], 4
	v_add_co_ci_u32_e64 v2, null, s28, 0, s4
	s_sub_u32 s13, 0, s26
	s_subb_u32 s27, 0, s27
	s_mov_b32 s26, 0
	s_mov_b32 s28, s18
.LBB15_4:                               ; =>This Inner Loop Header: Depth=1
	global_load_b128 v[4:7], v[1:2], off
	s_add_i32 s28, s28, -1
	v_add_co_u32 v1, vcc_lo, v1, s13
	v_cmp_le_i32_e64 s4, s28, v0
	v_add_co_ci_u32_e32 v2, vcc_lo, s27, v2, vcc_lo
	s_delay_alu instid0(VALU_DEP_2)
	s_or_b32 s26, s4, s26
	s_waitcnt vmcnt(0)
	ds_store_2addr_b64 v3, v[4:5], v[6:7] offset1:1
	v_add_nc_u32_e32 v3, s5, v3
	s_and_not1_b32 exec_lo, exec_lo, s26
	s_cbranch_execnz .LBB15_4
; %bb.5:
	s_or_b32 exec_lo, exec_lo, s26
	s_mov_b32 s4, 0
.LBB15_6:
	s_delay_alu instid0(SALU_CYCLE_1)
	s_and_b32 vcc_lo, exec_lo, s4
	s_cbranch_vccz .LBB15_14
; %bb.7:
	v_dual_mov_b32 v3, 0 :: v_dual_add_nc_u32 v4, 1, v0
	s_ashr_i32 s13, s12, 31
	s_mov_b32 s5, exec_lo
	v_cmpx_lt_u32_e32 2, v0
	s_cbranch_execz .LBB15_11
; %bb.8:
	s_lshl_b64 s[26:27], s[24:25], 4
	v_lshlrev_b32_e32 v5, 4, v0
	s_add_u32 s4, s20, s26
	s_addc_u32 s28, s21, s27
	s_lshl_b64 s[26:27], s[22:23], 4
	v_and_b32_e32 v3, 0x7fc, v4
	s_add_u32 s4, s4, s26
	s_addc_u32 s28, s28, s27
	s_lshl_b64 s[26:27], s[6:7], 4
	s_mul_hi_i32 s33, s12, 48
	s_add_u32 s4, s4, s26
	s_addc_u32 s26, s28, s27
	v_add_co_u32 v1, s4, s4, v5
	s_delay_alu instid0(VALU_DEP_1)
	v_add_co_ci_u32_e64 v2, null, s26, 0, s4
	s_mul_i32 s34, s12, 48
	s_lshl_b64 s[26:27], s[12:13], 6
	s_lshl_b64 s[28:29], s[12:13], 5
	;; [unrolled: 1-line block ×3, first 2 shown]
	s_lshl_b32 s35, s18, 4
	s_lshl_b32 s36, s18, 6
	;; [unrolled: 1-line block ×3, first 2 shown]
	s_mul_i32 s39, s18, 48
	s_mov_b32 s38, 0
	s_mov_b32 s40, 0
	s_set_inst_prefetch_distance 0x1
	.p2align	6
.LBB15_9:                               ; =>This Inner Loop Header: Depth=1
	v_add_co_u32 v10, vcc_lo, v1, s30
	v_add_co_ci_u32_e32 v11, vcc_lo, s31, v2, vcc_lo
	v_add_co_u32 v14, vcc_lo, v1, s28
	v_add_co_ci_u32_e32 v15, vcc_lo, s29, v2, vcc_lo
	;; [unrolled: 2-line block ×3, first 2 shown]
	s_clause 0x3
	global_load_b128 v[6:9], v[1:2], off
	global_load_b128 v[10:13], v[10:11], off
	;; [unrolled: 1-line block ×4, first 2 shown]
	s_add_i32 s40, s40, 4
	v_add_co_u32 v1, s4, v1, s26
	v_cmp_eq_u32_e32 vcc_lo, s40, v3
	v_add_nc_u32_e32 v22, s35, v5
	v_add_nc_u32_e32 v23, s37, v5
	;; [unrolled: 1-line block ×3, first 2 shown]
	v_add_co_ci_u32_e64 v2, s4, s27, v2, s4
	s_or_b32 s38, vcc_lo, s38
	s_waitcnt vmcnt(3)
	ds_store_2addr_b64 v5, v[6:7], v[8:9] offset1:1
	v_add_nc_u32_e32 v5, s36, v5
	s_waitcnt vmcnt(2)
	ds_store_2addr_b64 v22, v[10:11], v[12:13] offset1:1
	s_waitcnt vmcnt(1)
	ds_store_2addr_b64 v23, v[14:15], v[16:17] offset1:1
	;; [unrolled: 2-line block ×3, first 2 shown]
	s_and_not1_b32 exec_lo, exec_lo, s38
	s_cbranch_execnz .LBB15_9
; %bb.10:
	s_set_inst_prefetch_distance 0x2
	s_or_b32 exec_lo, exec_lo, s38
.LBB15_11:
	s_delay_alu instid0(SALU_CYCLE_1) | instskip(SKIP_2) | instid1(VALU_DEP_1)
	s_or_b32 exec_lo, exec_lo, s5
	v_and_b32_e32 v4, 3, v4
	s_mov_b32 s5, 0
	v_cmp_ne_u32_e32 vcc_lo, 0, v4
	s_and_b32 exec_lo, exec_lo, vcc_lo
	s_cbranch_execz .LBB15_14
; %bb.12:
	v_mad_i64_i32 v[1:2], null, s12, v3, 0
	s_lshl_b64 s[6:7], s[6:7], 4
	s_lshl_b64 s[26:27], s[24:25], 4
	s_lshl_b32 s24, s18, 4
	s_add_u32 s4, s6, s26
	s_addc_u32 s25, s7, s27
	s_lshl_b64 s[6:7], s[22:23], 4
	s_delay_alu instid0(VALU_DEP_1) | instskip(SKIP_4) | instid1(VALU_DEP_3)
	v_lshlrev_b64 v[1:2], 4, v[1:2]
	s_add_u32 s4, s6, s4
	v_lshlrev_b32_e32 v5, 4, v0
	s_addc_u32 s6, s7, s25
	v_mul_lo_u32 v3, v3, s18
	v_add_co_u32 v1, vcc_lo, s4, v1
	v_add_co_ci_u32_e32 v2, vcc_lo, s6, v2, vcc_lo
	s_lshl_b64 s[6:7], s[12:13], 4
	s_delay_alu instid0(VALU_DEP_2) | instskip(NEXT) | instid1(VALU_DEP_2)
	v_add_co_u32 v1, vcc_lo, v1, v5
	v_add_co_ci_u32_e32 v2, vcc_lo, 0, v2, vcc_lo
	v_add_lshl_u32 v3, v0, v3, 4
	s_delay_alu instid0(VALU_DEP_3) | instskip(NEXT) | instid1(VALU_DEP_3)
	v_add_co_u32 v1, vcc_lo, s20, v1
	v_add_co_ci_u32_e32 v2, vcc_lo, s21, v2, vcc_lo
.LBB15_13:                              ; =>This Inner Loop Header: Depth=1
	global_load_b128 v[5:8], v[1:2], off
	v_add_nc_u32_e32 v4, -1, v4
	v_add_co_u32 v1, vcc_lo, v1, s6
	v_add_co_ci_u32_e32 v2, vcc_lo, s7, v2, vcc_lo
	s_delay_alu instid0(VALU_DEP_3) | instskip(NEXT) | instid1(VALU_DEP_1)
	v_cmp_eq_u32_e64 s4, 0, v4
	s_or_b32 s5, s4, s5
	s_waitcnt vmcnt(0)
	ds_store_2addr_b64 v3, v[5:6], v[7:8] offset1:1
	v_add_nc_u32_e32 v3, s24, v3
	s_and_not1_b32 exec_lo, exec_lo, s5
	s_cbranch_execnz .LBB15_13
.LBB15_14:
	s_or_b32 exec_lo, exec_lo, s19
	s_waitcnt lgkmcnt(0)
	s_barrier
	buffer_gl0_inv
                                        ; implicit-def: $vgpr9
	s_and_saveexec_b32 s4, s3
	s_delay_alu instid0(SALU_CYCLE_1)
	s_xor_b32 s3, exec_lo, s4
; %bb.15:
	v_mad_u64_u32 v[9:10], null, v0, s18, v[0:1]
; %bb.16:
	s_and_not1_saveexec_b32 s4, s3
	s_cbranch_execz .LBB15_27
; %bb.17:
	v_mad_u64_u32 v[9:10], null, v0, s18, v[0:1]
	s_cmpk_eq_i32 s17, 0x84
	s_delay_alu instid0(VALU_DEP_1)
	v_lshlrev_b32_e32 v10, 4, v9
	s_cbranch_scc1 .LBB15_25
; %bb.18:
	ds_load_b128 v[1:4], v10
	v_mov_b32_e32 v7, 0
	v_dual_mov_b32 v8, 0 :: v_dual_mov_b32 v5, 0
	v_mov_b32_e32 v6, 0x3ff00000
	s_waitcnt lgkmcnt(0)
	v_cmp_neq_f64_e32 vcc_lo, 0, v[1:2]
	v_cmp_neq_f64_e64 s3, 0, v[3:4]
	s_delay_alu instid0(VALU_DEP_1) | instskip(NEXT) | instid1(SALU_CYCLE_1)
	s_or_b32 s3, vcc_lo, s3
	s_and_saveexec_b32 s5, s3
	s_cbranch_execz .LBB15_24
; %bb.19:
	v_cmp_gt_f64_e32 vcc_lo, 0, v[1:2]
	v_cmp_gt_f64_e64 s3, 0, v[3:4]
	v_xor_b32_e32 v5, 0x80000000, v2
	v_xor_b32_e32 v7, 0x80000000, v4
	s_delay_alu instid0(VALU_DEP_2) | instskip(NEXT) | instid1(VALU_DEP_2)
	v_cndmask_b32_e32 v6, v2, v5, vcc_lo
	v_cndmask_b32_e64 v8, v4, v7, s3
	v_cndmask_b32_e32 v5, v1, v1, vcc_lo
	v_cndmask_b32_e64 v7, v3, v3, s3
	s_delay_alu instid0(VALU_DEP_1) | instskip(SKIP_1) | instid1(SALU_CYCLE_1)
	v_cmp_ngt_f64_e32 vcc_lo, v[5:6], v[7:8]
                                        ; implicit-def: $vgpr7_vgpr8
	s_and_saveexec_b32 s3, vcc_lo
	s_xor_b32 s3, exec_lo, s3
	s_cbranch_execz .LBB15_21
; %bb.20:
	v_div_scale_f64 v[5:6], null, v[3:4], v[3:4], v[1:2]
	v_div_scale_f64 v[13:14], vcc_lo, v[1:2], v[3:4], v[1:2]
	s_delay_alu instid0(VALU_DEP_2) | instskip(SKIP_2) | instid1(VALU_DEP_1)
	v_rcp_f64_e32 v[7:8], v[5:6]
	s_waitcnt_depctr 0xfff
	v_fma_f64 v[11:12], -v[5:6], v[7:8], 1.0
	v_fma_f64 v[7:8], v[7:8], v[11:12], v[7:8]
	s_delay_alu instid0(VALU_DEP_1) | instskip(NEXT) | instid1(VALU_DEP_1)
	v_fma_f64 v[11:12], -v[5:6], v[7:8], 1.0
	v_fma_f64 v[7:8], v[7:8], v[11:12], v[7:8]
	s_delay_alu instid0(VALU_DEP_1) | instskip(NEXT) | instid1(VALU_DEP_1)
	v_mul_f64 v[11:12], v[13:14], v[7:8]
	v_fma_f64 v[5:6], -v[5:6], v[11:12], v[13:14]
	s_delay_alu instid0(VALU_DEP_1) | instskip(NEXT) | instid1(VALU_DEP_1)
	v_div_fmas_f64 v[5:6], v[5:6], v[7:8], v[11:12]
	v_div_fixup_f64 v[5:6], v[5:6], v[3:4], v[1:2]
	s_delay_alu instid0(VALU_DEP_1) | instskip(NEXT) | instid1(VALU_DEP_1)
	v_fma_f64 v[1:2], v[1:2], v[5:6], v[3:4]
	v_div_scale_f64 v[3:4], null, v[1:2], v[1:2], 1.0
	s_delay_alu instid0(VALU_DEP_1) | instskip(SKIP_2) | instid1(VALU_DEP_1)
	v_rcp_f64_e32 v[7:8], v[3:4]
	s_waitcnt_depctr 0xfff
	v_fma_f64 v[11:12], -v[3:4], v[7:8], 1.0
	v_fma_f64 v[7:8], v[7:8], v[11:12], v[7:8]
	s_delay_alu instid0(VALU_DEP_1) | instskip(NEXT) | instid1(VALU_DEP_1)
	v_fma_f64 v[11:12], -v[3:4], v[7:8], 1.0
	v_fma_f64 v[7:8], v[7:8], v[11:12], v[7:8]
	v_div_scale_f64 v[11:12], vcc_lo, 1.0, v[1:2], 1.0
	s_delay_alu instid0(VALU_DEP_1) | instskip(NEXT) | instid1(VALU_DEP_1)
	v_mul_f64 v[13:14], v[11:12], v[7:8]
	v_fma_f64 v[3:4], -v[3:4], v[13:14], v[11:12]
	s_delay_alu instid0(VALU_DEP_1) | instskip(NEXT) | instid1(VALU_DEP_1)
	v_div_fmas_f64 v[3:4], v[3:4], v[7:8], v[13:14]
	v_div_fixup_f64 v[7:8], v[3:4], v[1:2], 1.0
                                        ; implicit-def: $vgpr1_vgpr2
	s_delay_alu instid0(VALU_DEP_1)
	v_mul_f64 v[5:6], v[5:6], v[7:8]
	v_xor_b32_e32 v8, 0x80000000, v8
.LBB15_21:
	s_and_not1_saveexec_b32 s3, s3
	s_cbranch_execz .LBB15_23
; %bb.22:
	v_div_scale_f64 v[5:6], null, v[1:2], v[1:2], v[3:4]
	v_div_scale_f64 v[13:14], vcc_lo, v[3:4], v[1:2], v[3:4]
	s_delay_alu instid0(VALU_DEP_2) | instskip(SKIP_2) | instid1(VALU_DEP_1)
	v_rcp_f64_e32 v[7:8], v[5:6]
	s_waitcnt_depctr 0xfff
	v_fma_f64 v[11:12], -v[5:6], v[7:8], 1.0
	v_fma_f64 v[7:8], v[7:8], v[11:12], v[7:8]
	s_delay_alu instid0(VALU_DEP_1) | instskip(NEXT) | instid1(VALU_DEP_1)
	v_fma_f64 v[11:12], -v[5:6], v[7:8], 1.0
	v_fma_f64 v[7:8], v[7:8], v[11:12], v[7:8]
	s_delay_alu instid0(VALU_DEP_1) | instskip(NEXT) | instid1(VALU_DEP_1)
	v_mul_f64 v[11:12], v[13:14], v[7:8]
	v_fma_f64 v[5:6], -v[5:6], v[11:12], v[13:14]
	s_delay_alu instid0(VALU_DEP_1) | instskip(NEXT) | instid1(VALU_DEP_1)
	v_div_fmas_f64 v[5:6], v[5:6], v[7:8], v[11:12]
	v_div_fixup_f64 v[7:8], v[5:6], v[1:2], v[3:4]
	s_delay_alu instid0(VALU_DEP_1) | instskip(NEXT) | instid1(VALU_DEP_1)
	v_fma_f64 v[1:2], v[3:4], v[7:8], v[1:2]
	v_div_scale_f64 v[3:4], null, v[1:2], v[1:2], 1.0
	s_delay_alu instid0(VALU_DEP_1) | instskip(SKIP_2) | instid1(VALU_DEP_1)
	v_rcp_f64_e32 v[5:6], v[3:4]
	s_waitcnt_depctr 0xfff
	v_fma_f64 v[11:12], -v[3:4], v[5:6], 1.0
	v_fma_f64 v[5:6], v[5:6], v[11:12], v[5:6]
	s_delay_alu instid0(VALU_DEP_1) | instskip(NEXT) | instid1(VALU_DEP_1)
	v_fma_f64 v[11:12], -v[3:4], v[5:6], 1.0
	v_fma_f64 v[5:6], v[5:6], v[11:12], v[5:6]
	v_div_scale_f64 v[11:12], vcc_lo, 1.0, v[1:2], 1.0
	s_delay_alu instid0(VALU_DEP_1) | instskip(NEXT) | instid1(VALU_DEP_1)
	v_mul_f64 v[13:14], v[11:12], v[5:6]
	v_fma_f64 v[3:4], -v[3:4], v[13:14], v[11:12]
	s_delay_alu instid0(VALU_DEP_1) | instskip(NEXT) | instid1(VALU_DEP_1)
	v_div_fmas_f64 v[3:4], v[3:4], v[5:6], v[13:14]
	v_div_fixup_f64 v[5:6], v[3:4], v[1:2], 1.0
	s_delay_alu instid0(VALU_DEP_1)
	v_mul_f64 v[7:8], v[7:8], -v[5:6]
.LBB15_23:
	s_or_b32 exec_lo, exec_lo, s3
.LBB15_24:
	s_delay_alu instid0(SALU_CYCLE_1)
	s_or_b32 exec_lo, exec_lo, s5
	s_branch .LBB15_26
.LBB15_25:
	v_mov_b32_e32 v5, 0
	v_dual_mov_b32 v6, 0x3ff00000 :: v_dual_mov_b32 v7, 0
	v_mov_b32_e32 v8, 0
.LBB15_26:
	ds_store_b128 v10, v[5:8]
.LBB15_27:
	s_or_b32 exec_lo, exec_lo, s4
	s_delay_alu instid0(VALU_DEP_1)
	v_lshlrev_b32_e32 v5, 4, v9
	v_add_lshl_u32 v6, v0, s18, 4
	s_lshl_b32 s19, s18, 4
	s_mov_b32 s3, 16
	s_add_i32 s4, s19, 16
	s_mov_b32 s5, 0
	s_waitcnt lgkmcnt(0)
	s_barrier
	buffer_gl0_inv
	s_branch .LBB15_29
.LBB15_28:                              ;   in Loop: Header=BB15_29 Depth=1
	v_add_nc_u32_e32 v6, s19, v6
	s_add_i32 s3, s3, s4
	s_cmp_eq_u32 s5, s18
	s_barrier
	buffer_gl0_inv
	s_cbranch_scc1 .LBB15_38
.LBB15_29:                              ; =>This Loop Header: Depth=1
                                        ;     Child Loop BB15_34 Depth 2
	v_mov_b32_e32 v1, 0
	v_mov_b32_e32 v2, 0
	s_mul_i32 s7, s5, s18
	s_mov_b32 s6, exec_lo
	v_add_lshl_u32 v7, s7, v0, 4
	s_delay_alu instid0(VALU_DEP_2)
	v_dual_mov_b32 v4, v2 :: v_dual_mov_b32 v3, v1
	v_cmpx_lt_u32_e64 s5, v0
	s_cbranch_execz .LBB15_31
; %bb.30:                               ;   in Loop: Header=BB15_29 Depth=1
	s_add_i32 s7, s7, s5
	s_delay_alu instid0(SALU_CYCLE_1) | instskip(NEXT) | instid1(SALU_CYCLE_1)
	s_lshl_b32 s7, s7, 4
	v_mov_b32_e32 v1, s7
	ds_load_b128 v[1:4], v1
	ds_load_b128 v[8:11], v7
	s_waitcnt lgkmcnt(0)
	v_mul_f64 v[12:13], v[3:4], v[10:11]
	v_mul_f64 v[10:11], v[1:2], v[10:11]
	s_delay_alu instid0(VALU_DEP_2) | instskip(NEXT) | instid1(VALU_DEP_2)
	v_fma_f64 v[1:2], v[1:2], v[8:9], -v[12:13]
	v_fma_f64 v[3:4], v[3:4], v[8:9], v[10:11]
	s_delay_alu instid0(VALU_DEP_2) | instskip(NEXT) | instid1(VALU_DEP_2)
	v_add_f64 v[1:2], v[1:2], 0
	v_add_f64 v[3:4], v[3:4], 0
.LBB15_31:                              ;   in Loop: Header=BB15_29 Depth=1
	s_or_b32 exec_lo, exec_lo, s6
	s_add_i32 s5, s5, 1
	s_delay_alu instid0(SALU_CYCLE_1)
	s_cmp_ge_i32 s5, s18
	s_barrier
	buffer_gl0_inv
	s_cbranch_scc1 .LBB15_28
; %bb.32:                               ;   in Loop: Header=BB15_29 Depth=1
	v_mov_b32_e32 v8, v6
	s_mov_b32 s6, s3
	s_mov_b32 s7, s5
	s_branch .LBB15_34
.LBB15_33:                              ;   in Loop: Header=BB15_34 Depth=2
	s_or_b32 exec_lo, exec_lo, s12
	v_add_nc_u32_e32 v8, s19, v8
	s_add_i32 s7, s7, 1
	s_add_i32 s6, s6, 16
	s_cmp_ge_i32 s7, s18
	s_barrier
	buffer_gl0_inv
	s_cbranch_scc1 .LBB15_28
.LBB15_34:                              ;   Parent Loop BB15_29 Depth=1
                                        ; =>  This Inner Loop Header: Depth=2
	s_mov_b32 s12, exec_lo
	v_cmpx_eq_u32_e64 s7, v0
	s_cbranch_execz .LBB15_36
; %bb.35:                               ;   in Loop: Header=BB15_34 Depth=2
	ds_load_b128 v[9:12], v5
	v_add_f64 v[13:14], -v[1:2], 0
	s_waitcnt lgkmcnt(0)
	v_mul_f64 v[15:16], v[3:4], v[11:12]
	v_mul_f64 v[17:18], v[3:4], v[9:10]
	s_delay_alu instid0(VALU_DEP_2) | instskip(NEXT) | instid1(VALU_DEP_2)
	v_fma_f64 v[9:10], v[13:14], v[9:10], v[15:16]
	v_fma_f64 v[11:12], v[13:14], v[11:12], -v[17:18]
	ds_store_b128 v7, v[9:12]
.LBB15_36:                              ;   in Loop: Header=BB15_34 Depth=2
	s_or_b32 exec_lo, exec_lo, s12
	s_delay_alu instid0(SALU_CYCLE_1)
	s_mov_b32 s12, exec_lo
	s_waitcnt lgkmcnt(0)
	s_barrier
	buffer_gl0_inv
	v_cmpx_lt_u32_e64 s7, v0
	s_cbranch_execz .LBB15_33
; %bb.37:                               ;   in Loop: Header=BB15_34 Depth=2
	v_mov_b32_e32 v13, s6
	ds_load_b128 v[9:12], v8
	ds_load_b128 v[13:16], v13
	s_waitcnt lgkmcnt(0)
	v_mul_f64 v[17:18], v[15:16], v[11:12]
	v_mul_f64 v[11:12], v[13:14], v[11:12]
	s_delay_alu instid0(VALU_DEP_2) | instskip(NEXT) | instid1(VALU_DEP_2)
	v_fma_f64 v[13:14], v[13:14], v[9:10], -v[17:18]
	v_fma_f64 v[9:10], v[15:16], v[9:10], v[11:12]
	s_delay_alu instid0(VALU_DEP_2) | instskip(NEXT) | instid1(VALU_DEP_2)
	v_add_f64 v[1:2], v[1:2], v[13:14]
	v_add_f64 v[3:4], v[3:4], v[9:10]
	s_branch .LBB15_33
.LBB15_38:
	s_and_saveexec_b32 s3, s2
	s_cbranch_execz .LBB15_51
; %bb.39:
	s_clause 0x1
	s_load_b128 s[4:7], s[0:1], 0x50
	s_load_b32 s2, s[0:1], 0x48
	v_lshlrev_b32_e32 v3, 4, v0
	s_waitcnt lgkmcnt(0)
	s_mul_i32 s0, s15, s5
	s_mul_hi_u32 s1, s15, s4
	s_mul_i32 s3, s14, s7
	s_mul_hi_u32 s7, s14, s6
	s_add_i32 s5, s1, s0
	s_add_i32 s7, s7, s3
	s_mul_i32 s4, s15, s4
	s_mul_i32 s6, s14, s6
	s_cmpk_lg_i32 s16, 0x7a
	s_mov_b32 s0, -1
	s_cbranch_scc0 .LBB15_43
; %bb.40:
	s_add_i32 s14, s18, -1
	s_lshl_b64 s[0:1], s[6:7], 4
	s_lshl_b64 s[12:13], s[4:5], 4
	s_ashr_i32 s3, s2, 31
	s_add_u32 s12, s0, s12
	s_mul_i32 s0, s3, s14
	s_mul_hi_u32 s15, s2, s14
	s_addc_u32 s13, s1, s13
	s_add_i32 s1, s15, s0
	s_mul_i32 s0, s2, s14
	v_lshlrev_b32_e32 v1, 4, v0
	s_lshl_b64 s[0:1], s[0:1], 4
	s_delay_alu instid0(SALU_CYCLE_1)
	s_add_u32 s12, s12, s0
	s_addc_u32 s13, s13, s1
	s_lshl_b64 s[0:1], s[10:11], 4
	v_sub_nc_u32_e32 v4, s19, v1
	s_add_u32 s0, s12, s0
	s_addc_u32 s1, s13, s1
	s_add_u32 s0, s8, s0
	s_addc_u32 s1, s9, s1
	v_add_co_u32 v1, s0, s0, v1
	s_lshl_b64 s[12:13], s[2:3], 4
	v_add_co_ci_u32_e64 v2, null, s1, 0, s0
	v_add_nc_u32_e32 v4, -16, v4
	s_sub_u32 s1, 0, s12
	s_subb_u32 s12, 0, s13
	s_mov_b32 s3, 0
	s_mov_b32 s13, s18
.LBB15_41:                              ; =>This Inner Loop Header: Depth=1
	ds_load_2addr_b64 v[5:8], v4 offset1:1
	s_add_i32 s13, s13, -1
	v_add_nc_u32_e32 v4, s19, v4
	v_cmp_le_i32_e32 vcc_lo, s13, v0
	s_or_b32 s3, vcc_lo, s3
	s_waitcnt lgkmcnt(0)
	global_store_b128 v[1:2], v[5:8], off
	v_add_co_u32 v1, s0, v1, s1
	s_delay_alu instid0(VALU_DEP_1)
	v_add_co_ci_u32_e64 v2, s0, s12, v2, s0
	s_and_not1_b32 exec_lo, exec_lo, s3
	s_cbranch_execnz .LBB15_41
; %bb.42:
	s_or_b32 exec_lo, exec_lo, s3
	s_mov_b32 s0, 0
.LBB15_43:
	s_delay_alu instid0(SALU_CYCLE_1)
	s_and_b32 vcc_lo, exec_lo, s0
	s_cbranch_vccz .LBB15_51
; %bb.44:
	v_dual_mov_b32 v4, 0 :: v_dual_add_nc_u32 v5, 1, v0
	s_ashr_i32 s3, s2, 31
	s_mov_b32 s1, exec_lo
	v_cmpx_lt_u32_e32 2, v0
	s_cbranch_execz .LBB15_48
; %bb.45:
	s_lshl_b64 s[12:13], s[4:5], 4
	v_and_b32_e32 v4, 0x7fc, v5
	s_add_u32 s0, s8, s12
	s_addc_u32 s14, s9, s13
	s_lshl_b64 s[12:13], s[10:11], 4
	v_mov_b32_e32 v6, v3
	s_add_u32 s0, s0, s12
	s_addc_u32 s14, s14, s13
	s_lshl_b64 s[12:13], s[6:7], 4
	s_mul_hi_i32 s20, s2, 48
	s_add_u32 s0, s0, s12
	s_addc_u32 s12, s14, s13
	v_add_co_u32 v1, s0, s0, v3
	s_delay_alu instid0(VALU_DEP_1)
	v_add_co_ci_u32_e64 v2, null, s12, 0, s0
	s_mul_i32 s21, s2, 48
	s_lshl_b64 s[12:13], s[2:3], 6
	s_lshl_b64 s[14:15], s[2:3], 5
	;; [unrolled: 1-line block ×3, first 2 shown]
	s_lshl_b32 s22, s18, 6
	s_lshl_b32 s23, s18, 5
	s_mul_i32 s25, s18, 48
	s_mov_b32 s24, 0
	s_mov_b32 s26, 0
	s_set_inst_prefetch_distance 0x1
	.p2align	6
.LBB15_46:                              ; =>This Inner Loop Header: Depth=1
	ds_load_2addr_b64 v[7:10], v6 offset1:1
	v_add_nc_u32_e32 v11, s19, v6
	v_add_nc_u32_e32 v15, s23, v6
	;; [unrolled: 1-line block ×3, first 2 shown]
	v_add_co_u32 v23, vcc_lo, v1, s16
	ds_load_2addr_b64 v[11:14], v11 offset1:1
	ds_load_2addr_b64 v[15:18], v15 offset1:1
	;; [unrolled: 1-line block ×3, first 2 shown]
	v_add_co_ci_u32_e32 v24, vcc_lo, s17, v2, vcc_lo
	v_add_co_u32 v25, vcc_lo, v1, s14
	v_add_co_ci_u32_e32 v26, vcc_lo, s15, v2, vcc_lo
	v_add_co_u32 v27, vcc_lo, v1, s21
	s_add_i32 s26, s26, 4
	v_add_co_ci_u32_e32 v28, vcc_lo, s20, v2, vcc_lo
	v_cmp_eq_u32_e32 vcc_lo, s26, v4
	v_add_nc_u32_e32 v6, s22, v6
	s_waitcnt lgkmcnt(3)
	global_store_b128 v[1:2], v[7:10], off
	v_add_co_u32 v1, s0, v1, s12
	s_delay_alu instid0(VALU_DEP_1)
	v_add_co_ci_u32_e64 v2, s0, s13, v2, s0
	s_or_b32 s24, vcc_lo, s24
	s_waitcnt lgkmcnt(2)
	global_store_b128 v[23:24], v[11:14], off
	s_waitcnt lgkmcnt(1)
	global_store_b128 v[25:26], v[15:18], off
	;; [unrolled: 2-line block ×3, first 2 shown]
	s_and_not1_b32 exec_lo, exec_lo, s24
	s_cbranch_execnz .LBB15_46
; %bb.47:
	s_set_inst_prefetch_distance 0x2
	s_or_b32 exec_lo, exec_lo, s24
.LBB15_48:
	s_delay_alu instid0(SALU_CYCLE_1) | instskip(SKIP_2) | instid1(VALU_DEP_1)
	s_or_b32 exec_lo, exec_lo, s1
	v_and_b32_e32 v5, 3, v5
	s_mov_b32 s1, 0
	v_cmp_ne_u32_e32 vcc_lo, 0, v5
	s_and_b32 exec_lo, exec_lo, vcc_lo
	s_cbranch_execz .LBB15_51
; %bb.49:
	v_mad_i64_i32 v[1:2], null, s2, v4, 0
	s_lshl_b64 s[6:7], s[6:7], 4
	s_lshl_b64 s[4:5], s[4:5], 4
	v_mul_lo_u32 v4, v4, s18
	s_add_u32 s0, s6, s4
	s_addc_u32 s6, s7, s5
	s_lshl_b64 s[4:5], s[10:11], 4
	s_delay_alu instid0(VALU_DEP_2) | instskip(SKIP_4) | instid1(VALU_DEP_2)
	v_lshlrev_b64 v[1:2], 4, v[1:2]
	s_add_u32 s0, s4, s0
	s_addc_u32 s4, s5, s6
	s_lshl_b64 s[2:3], s[2:3], 4
	v_add_lshl_u32 v0, v0, v4, 4
	v_add_co_u32 v1, vcc_lo, s0, v1
	v_add_co_ci_u32_e32 v2, vcc_lo, s4, v2, vcc_lo
	s_delay_alu instid0(VALU_DEP_2) | instskip(NEXT) | instid1(VALU_DEP_2)
	v_add_co_u32 v1, vcc_lo, v1, v3
	v_add_co_ci_u32_e32 v2, vcc_lo, 0, v2, vcc_lo
	s_delay_alu instid0(VALU_DEP_2) | instskip(NEXT) | instid1(VALU_DEP_2)
	v_add_co_u32 v1, vcc_lo, s8, v1
	v_add_co_ci_u32_e32 v2, vcc_lo, s9, v2, vcc_lo
.LBB15_50:                              ; =>This Inner Loop Header: Depth=1
	ds_load_2addr_b64 v[6:9], v0 offset1:1
	v_add_nc_u32_e32 v5, -1, v5
	v_add_nc_u32_e32 v0, s19, v0
	s_delay_alu instid0(VALU_DEP_2) | instskip(SKIP_4) | instid1(VALU_DEP_1)
	v_cmp_eq_u32_e32 vcc_lo, 0, v5
	s_or_b32 s1, vcc_lo, s1
	s_waitcnt lgkmcnt(0)
	global_store_b128 v[1:2], v[6:9], off
	v_add_co_u32 v1, s0, v1, s2
	v_add_co_ci_u32_e64 v2, s0, s3, v2, s0
	s_and_not1_b32 exec_lo, exec_lo, s1
	s_cbranch_execnz .LBB15_50
.LBB15_51:
	s_nop 0
	s_sendmsg sendmsg(MSG_DEALLOC_VGPRS)
	s_endpgm
	.section	.rodata,"a",@progbits
	.p2align	6, 0x0
	.amdhsa_kernel _ZL30rocblas_trtri_remainder_kernelILi16E19rocblas_complex_numIdEPKS1_PS1_Ev13rocblas_fill_17rocblas_diagonal_iT1_lillT2_lilli
		.amdhsa_group_segment_fixed_size 16384
		.amdhsa_private_segment_fixed_size 0
		.amdhsa_kernarg_size 100
		.amdhsa_user_sgpr_count 14
		.amdhsa_user_sgpr_dispatch_ptr 0
		.amdhsa_user_sgpr_queue_ptr 0
		.amdhsa_user_sgpr_kernarg_segment_ptr 1
		.amdhsa_user_sgpr_dispatch_id 0
		.amdhsa_user_sgpr_private_segment_size 0
		.amdhsa_wavefront_size32 1
		.amdhsa_uses_dynamic_stack 0
		.amdhsa_enable_private_segment 0
		.amdhsa_system_sgpr_workgroup_id_x 1
		.amdhsa_system_sgpr_workgroup_id_y 0
		.amdhsa_system_sgpr_workgroup_id_z 1
		.amdhsa_system_sgpr_workgroup_info 0
		.amdhsa_system_vgpr_workitem_id 0
		.amdhsa_next_free_vgpr 29
		.amdhsa_next_free_sgpr 41
		.amdhsa_reserve_vcc 1
		.amdhsa_float_round_mode_32 0
		.amdhsa_float_round_mode_16_64 0
		.amdhsa_float_denorm_mode_32 3
		.amdhsa_float_denorm_mode_16_64 3
		.amdhsa_dx10_clamp 1
		.amdhsa_ieee_mode 1
		.amdhsa_fp16_overflow 0
		.amdhsa_workgroup_processor_mode 1
		.amdhsa_memory_ordered 1
		.amdhsa_forward_progress 0
		.amdhsa_shared_vgpr_count 0
		.amdhsa_exception_fp_ieee_invalid_op 0
		.amdhsa_exception_fp_denorm_src 0
		.amdhsa_exception_fp_ieee_div_zero 0
		.amdhsa_exception_fp_ieee_overflow 0
		.amdhsa_exception_fp_ieee_underflow 0
		.amdhsa_exception_fp_ieee_inexact 0
		.amdhsa_exception_int_div_zero 0
	.end_amdhsa_kernel
	.section	.text._ZL30rocblas_trtri_remainder_kernelILi16E19rocblas_complex_numIdEPKS1_PS1_Ev13rocblas_fill_17rocblas_diagonal_iT1_lillT2_lilli,"axG",@progbits,_ZL30rocblas_trtri_remainder_kernelILi16E19rocblas_complex_numIdEPKS1_PS1_Ev13rocblas_fill_17rocblas_diagonal_iT1_lillT2_lilli,comdat
.Lfunc_end15:
	.size	_ZL30rocblas_trtri_remainder_kernelILi16E19rocblas_complex_numIdEPKS1_PS1_Ev13rocblas_fill_17rocblas_diagonal_iT1_lillT2_lilli, .Lfunc_end15-_ZL30rocblas_trtri_remainder_kernelILi16E19rocblas_complex_numIdEPKS1_PS1_Ev13rocblas_fill_17rocblas_diagonal_iT1_lillT2_lilli
                                        ; -- End function
	.section	.AMDGPU.csdata,"",@progbits
; Kernel info:
; codeLenInByte = 2948
; NumSgprs: 43
; NumVgprs: 29
; ScratchSize: 0
; MemoryBound: 0
; FloatMode: 240
; IeeeMode: 1
; LDSByteSize: 16384 bytes/workgroup (compile time only)
; SGPRBlocks: 5
; VGPRBlocks: 3
; NumSGPRsForWavesPerEU: 43
; NumVGPRsForWavesPerEU: 29
; Occupancy: 16
; WaveLimiterHint : 0
; COMPUTE_PGM_RSRC2:SCRATCH_EN: 0
; COMPUTE_PGM_RSRC2:USER_SGPR: 14
; COMPUTE_PGM_RSRC2:TRAP_HANDLER: 0
; COMPUTE_PGM_RSRC2:TGID_X_EN: 1
; COMPUTE_PGM_RSRC2:TGID_Y_EN: 0
; COMPUTE_PGM_RSRC2:TGID_Z_EN: 1
; COMPUTE_PGM_RSRC2:TIDIG_COMP_CNT: 0
	.section	.text._ZL18rocblas_trtri_fillILi128EfPKPfEvP15_rocblas_handle13rocblas_fill_ililT1_llii,"axG",@progbits,_ZL18rocblas_trtri_fillILi128EfPKPfEvP15_rocblas_handle13rocblas_fill_ililT1_llii,comdat
	.globl	_ZL18rocblas_trtri_fillILi128EfPKPfEvP15_rocblas_handle13rocblas_fill_ililT1_llii ; -- Begin function _ZL18rocblas_trtri_fillILi128EfPKPfEvP15_rocblas_handle13rocblas_fill_ililT1_llii
	.p2align	8
	.type	_ZL18rocblas_trtri_fillILi128EfPKPfEvP15_rocblas_handle13rocblas_fill_ililT1_llii,@function
_ZL18rocblas_trtri_fillILi128EfPKPfEvP15_rocblas_handle13rocblas_fill_ililT1_llii: ; @_ZL18rocblas_trtri_fillILi128EfPKPfEvP15_rocblas_handle13rocblas_fill_ililT1_llii
; %bb.0:
	s_clause 0x1
	s_load_b64 s[2:3], s[0:1], 0x10
	s_load_b32 s6, s[0:1], 0x40
	s_mov_b32 s12, s15
	s_mov_b32 s15, 0
	s_delay_alu instid0(SALU_CYCLE_1) | instskip(NEXT) | instid1(SALU_CYCLE_1)
	s_lshl_b64 s[4:5], s[14:15], 7
	v_mov_b32_e32 v1, s5
	v_or_b32_e32 v0, s4, v0
	s_waitcnt lgkmcnt(0)
	s_mul_i32 s4, s6, s3
	s_mul_hi_u32 s5, s6, s2
	s_ashr_i32 s7, s6, 31
	s_add_i32 s4, s5, s4
	s_mul_i32 s7, s7, s2
	s_mul_i32 s8, s6, s2
	s_add_i32 s9, s4, s7
	s_mov_b32 s4, exec_lo
	v_cmpx_gt_u64_e64 s[8:9], v[0:1]
	s_cbranch_execz .LBB16_16
; %bb.1:
	s_clause 0x1
	s_load_b32 s10, s[0:1], 0x18
	s_load_b128 s[4:7], s[0:1], 0x20
	s_mov_b32 s13, s15
	s_load_b64 s[16:17], s[0:1], 0x30
	s_lshl_b64 s[12:13], s[12:13], 3
	v_cvt_f32_u32_e32 v4, s2
	v_cvt_f32_u32_e32 v2, s2
	;; [unrolled: 1-line block ×3, first 2 shown]
	s_delay_alu instid0(VALU_DEP_3) | instskip(NEXT) | instid1(VALU_DEP_1)
	v_rcp_iflag_f32_e32 v4, v4
	v_fmamk_f32 v5, v3, 0x4f800000, v2
	s_delay_alu instid0(VALU_DEP_1)
	v_rcp_f32_e32 v5, v5
	s_waitcnt_depctr 0xfff
	v_mul_f32_e32 v4, 0x4f7ffffe, v4
	s_waitcnt lgkmcnt(0)
	s_ashr_i32 s11, s10, 31
	s_add_u32 s6, s6, s12
	s_addc_u32 s7, s7, s13
	s_load_b64 s[12:13], s[6:7], 0x0
	s_load_b64 s[6:7], s[0:1], 0x8
	s_lshl_b64 s[16:17], s[16:17], 2
	v_cvt_u32_f32_e32 v6, v4
	v_mul_f32_e32 v5, 0x5f7ffffc, v5
	s_clause 0x1
	s_load_b32 s20, s[0:1], 0x48
	s_load_b32 s0, s[0:1], 0x54
	s_delay_alu instid0(VALU_DEP_1) | instskip(NEXT) | instid1(VALU_DEP_1)
	v_mul_f32_e32 v4, 0x2f800000, v5
	v_trunc_f32_e32 v8, v4
	s_delay_alu instid0(VALU_DEP_1)
	v_dual_mov_b32 v4, 0 :: v_dual_fmamk_f32 v5, v8, 0xcf800000, v5
	s_waitcnt lgkmcnt(0)
	s_add_u32 s14, s12, s16
	s_addc_u32 s16, s13, s17
	s_add_i32 s12, s7, -2
	s_ashr_i32 s17, s7, 31
	v_cvt_f64_i32_e32 v[2:3], s12
	s_add_i32 s12, s7, -1
	v_cvt_u32_f32_e32 v11, v5
	s_mul_hi_i32 s13, s12, s7
	s_mul_i32 s12, s12, s7
	v_cvt_u32_f32_e32 v12, v8
	s_lshl_b64 s[18:19], s[12:13], 2
	s_delay_alu instid0(SALU_CYCLE_1)
	s_add_u32 s1, s18, -7
	s_addc_u32 s18, s19, -1
	s_sub_i32 s19, 0, s2
	s_and_b32 s0, s0, 0xffff
	v_mul_lo_u32 v7, s19, v6
	s_lshr_b64 s[12:13], s[12:13], 1
	s_mul_hi_u32 s19, s0, s20
	s_mul_i32 s20, s0, s20
	s_delay_alu instid0(VALU_DEP_1) | instskip(NEXT) | instid1(VALU_DEP_1)
	v_mul_hi_u32 v7, v6, v7
	v_add_nc_u32_e32 v13, v6, v7
	s_branch .LBB16_3
.LBB16_2:                               ;   in Loop: Header=BB16_3 Depth=1
	v_add_co_u32 v0, vcc_lo, v0, s20
	v_add_co_ci_u32_e32 v1, vcc_lo, s19, v1, vcc_lo
	s_delay_alu instid0(VALU_DEP_1) | instskip(SKIP_1) | instid1(SALU_CYCLE_1)
	v_cmp_le_u64_e32 vcc_lo, s[8:9], v[0:1]
	s_or_b32 s15, vcc_lo, s15
	s_and_not1_b32 exec_lo, exec_lo, s15
	s_cbranch_execz .LBB16_16
.LBB16_3:                               ; =>This Inner Loop Header: Depth=1
	v_or_b32_e32 v5, s3, v1
	s_delay_alu instid0(VALU_DEP_1) | instskip(SKIP_1) | instid1(SALU_CYCLE_1)
	v_cmp_ne_u64_e32 vcc_lo, 0, v[4:5]
                                        ; implicit-def: $vgpr5_vgpr6
	s_and_saveexec_b32 s0, vcc_lo
	s_xor_b32 s21, exec_lo, s0
	s_cbranch_execz .LBB16_5
; %bb.4:                                ;   in Loop: Header=BB16_3 Depth=1
	s_sub_u32 s0, 0, s2
	s_subb_u32 s22, 0, s3
	v_mul_hi_u32 v5, s0, v11
	v_mul_lo_u32 v6, s0, v12
	v_mul_lo_u32 v7, s22, v11
	s_delay_alu instid0(VALU_DEP_2) | instskip(SKIP_1) | instid1(VALU_DEP_2)
	v_add_nc_u32_e32 v5, v5, v6
	v_mul_lo_u32 v6, s0, v11
	v_add_nc_u32_e32 v5, v5, v7
	s_delay_alu instid0(VALU_DEP_2) | instskip(NEXT) | instid1(VALU_DEP_2)
	v_mul_hi_u32 v7, v11, v6
	v_mul_lo_u32 v8, v11, v5
	v_mul_hi_u32 v9, v11, v5
	v_mul_hi_u32 v10, v12, v6
	v_mul_lo_u32 v6, v12, v6
	v_mul_hi_u32 v14, v12, v5
	v_mul_lo_u32 v5, v12, v5
	v_add_co_u32 v7, vcc_lo, v7, v8
	v_add_co_ci_u32_e32 v8, vcc_lo, 0, v9, vcc_lo
	s_delay_alu instid0(VALU_DEP_2) | instskip(NEXT) | instid1(VALU_DEP_2)
	v_add_co_u32 v6, vcc_lo, v7, v6
	v_add_co_ci_u32_e32 v6, vcc_lo, v8, v10, vcc_lo
	v_add_co_ci_u32_e32 v7, vcc_lo, 0, v14, vcc_lo
	s_delay_alu instid0(VALU_DEP_2) | instskip(NEXT) | instid1(VALU_DEP_2)
	v_add_co_u32 v5, vcc_lo, v6, v5
	v_add_co_ci_u32_e32 v6, vcc_lo, 0, v7, vcc_lo
	s_delay_alu instid0(VALU_DEP_2) | instskip(NEXT) | instid1(VALU_DEP_2)
	v_add_co_u32 v5, vcc_lo, v11, v5
	v_add_co_ci_u32_e32 v6, vcc_lo, v12, v6, vcc_lo
	s_delay_alu instid0(VALU_DEP_2) | instskip(SKIP_1) | instid1(VALU_DEP_3)
	v_mul_hi_u32 v7, s0, v5
	v_mul_lo_u32 v9, s22, v5
	v_mul_lo_u32 v8, s0, v6
	s_delay_alu instid0(VALU_DEP_1) | instskip(SKIP_1) | instid1(VALU_DEP_2)
	v_add_nc_u32_e32 v7, v7, v8
	v_mul_lo_u32 v8, s0, v5
	v_add_nc_u32_e32 v7, v7, v9
	s_delay_alu instid0(VALU_DEP_2) | instskip(NEXT) | instid1(VALU_DEP_2)
	v_mul_hi_u32 v9, v5, v8
	v_mul_lo_u32 v10, v5, v7
	v_mul_hi_u32 v14, v5, v7
	v_mul_hi_u32 v15, v6, v8
	v_mul_lo_u32 v8, v6, v8
	v_mul_hi_u32 v16, v6, v7
	v_mul_lo_u32 v7, v6, v7
	v_add_co_u32 v9, vcc_lo, v9, v10
	v_add_co_ci_u32_e32 v10, vcc_lo, 0, v14, vcc_lo
	s_delay_alu instid0(VALU_DEP_2) | instskip(NEXT) | instid1(VALU_DEP_2)
	v_add_co_u32 v8, vcc_lo, v9, v8
	v_add_co_ci_u32_e32 v8, vcc_lo, v10, v15, vcc_lo
	v_add_co_ci_u32_e32 v9, vcc_lo, 0, v16, vcc_lo
	s_delay_alu instid0(VALU_DEP_2) | instskip(NEXT) | instid1(VALU_DEP_2)
	v_add_co_u32 v7, vcc_lo, v8, v7
	v_add_co_ci_u32_e32 v8, vcc_lo, 0, v9, vcc_lo
	s_delay_alu instid0(VALU_DEP_2) | instskip(NEXT) | instid1(VALU_DEP_2)
	v_add_co_u32 v9, vcc_lo, v5, v7
	v_add_co_ci_u32_e32 v14, vcc_lo, v6, v8, vcc_lo
	s_delay_alu instid0(VALU_DEP_2) | instskip(SKIP_1) | instid1(VALU_DEP_3)
	v_mul_hi_u32 v15, v0, v9
	v_mad_u64_u32 v[7:8], null, v1, v9, 0
	v_mad_u64_u32 v[5:6], null, v0, v14, 0
	;; [unrolled: 1-line block ×3, first 2 shown]
	s_delay_alu instid0(VALU_DEP_2) | instskip(NEXT) | instid1(VALU_DEP_3)
	v_add_co_u32 v5, vcc_lo, v15, v5
	v_add_co_ci_u32_e32 v6, vcc_lo, 0, v6, vcc_lo
	s_delay_alu instid0(VALU_DEP_2) | instskip(NEXT) | instid1(VALU_DEP_2)
	v_add_co_u32 v5, vcc_lo, v5, v7
	v_add_co_ci_u32_e32 v5, vcc_lo, v6, v8, vcc_lo
	v_add_co_ci_u32_e32 v6, vcc_lo, 0, v10, vcc_lo
	s_delay_alu instid0(VALU_DEP_2) | instskip(NEXT) | instid1(VALU_DEP_2)
	v_add_co_u32 v7, vcc_lo, v5, v9
	v_add_co_ci_u32_e32 v8, vcc_lo, 0, v6, vcc_lo
	s_delay_alu instid0(VALU_DEP_2) | instskip(SKIP_1) | instid1(VALU_DEP_3)
	v_mul_lo_u32 v9, s3, v7
	v_mad_u64_u32 v[5:6], null, s2, v7, 0
	v_mul_lo_u32 v10, s2, v8
	s_delay_alu instid0(VALU_DEP_2) | instskip(NEXT) | instid1(VALU_DEP_2)
	v_sub_co_u32 v5, vcc_lo, v0, v5
	v_add3_u32 v6, v6, v10, v9
	s_delay_alu instid0(VALU_DEP_1) | instskip(NEXT) | instid1(VALU_DEP_1)
	v_sub_nc_u32_e32 v9, v1, v6
	v_subrev_co_ci_u32_e64 v9, s0, s3, v9, vcc_lo
	v_add_co_u32 v10, s0, v7, 2
	s_delay_alu instid0(VALU_DEP_1) | instskip(SKIP_3) | instid1(VALU_DEP_3)
	v_add_co_ci_u32_e64 v14, s0, 0, v8, s0
	v_sub_co_u32 v15, s0, v5, s2
	v_sub_co_ci_u32_e32 v6, vcc_lo, v1, v6, vcc_lo
	v_subrev_co_ci_u32_e64 v9, s0, 0, v9, s0
	v_cmp_le_u32_e32 vcc_lo, s2, v15
	s_delay_alu instid0(VALU_DEP_3) | instskip(SKIP_1) | instid1(VALU_DEP_4)
	v_cmp_eq_u32_e64 s0, s3, v6
	v_cndmask_b32_e64 v15, 0, -1, vcc_lo
	v_cmp_le_u32_e32 vcc_lo, s3, v9
	v_cndmask_b32_e64 v16, 0, -1, vcc_lo
	v_cmp_le_u32_e32 vcc_lo, s2, v5
	;; [unrolled: 2-line block ×3, first 2 shown]
	v_cndmask_b32_e64 v17, 0, -1, vcc_lo
	v_cmp_eq_u32_e32 vcc_lo, s3, v9
	s_delay_alu instid0(VALU_DEP_2) | instskip(SKIP_3) | instid1(VALU_DEP_3)
	v_cndmask_b32_e64 v5, v17, v5, s0
	v_cndmask_b32_e32 v9, v16, v15, vcc_lo
	v_add_co_u32 v15, vcc_lo, v7, 1
	v_add_co_ci_u32_e32 v16, vcc_lo, 0, v8, vcc_lo
	v_cmp_ne_u32_e32 vcc_lo, 0, v9
	s_delay_alu instid0(VALU_DEP_2) | instskip(NEXT) | instid1(VALU_DEP_4)
	v_cndmask_b32_e32 v6, v16, v14, vcc_lo
	v_cndmask_b32_e32 v9, v15, v10, vcc_lo
	v_cmp_ne_u32_e32 vcc_lo, 0, v5
	s_delay_alu instid0(VALU_DEP_2)
	v_dual_cndmask_b32 v6, v8, v6 :: v_dual_cndmask_b32 v5, v7, v9
.LBB16_5:                               ;   in Loop: Header=BB16_3 Depth=1
	s_and_not1_saveexec_b32 s0, s21
; %bb.6:                                ;   in Loop: Header=BB16_3 Depth=1
	v_mul_hi_u32 v5, v0, v13
	s_delay_alu instid0(VALU_DEP_1) | instskip(NEXT) | instid1(VALU_DEP_1)
	v_mul_lo_u32 v6, v5, s2
	v_sub_nc_u32_e32 v6, v0, v6
	s_delay_alu instid0(VALU_DEP_1) | instskip(SKIP_1) | instid1(VALU_DEP_2)
	v_subrev_nc_u32_e32 v8, s2, v6
	v_cmp_le_u32_e32 vcc_lo, s2, v6
	v_dual_cndmask_b32 v6, v6, v8 :: v_dual_add_nc_u32 v7, 1, v5
	s_delay_alu instid0(VALU_DEP_1) | instskip(NEXT) | instid1(VALU_DEP_2)
	v_cndmask_b32_e32 v5, v5, v7, vcc_lo
	v_cmp_le_u32_e32 vcc_lo, s2, v6
	s_delay_alu instid0(VALU_DEP_2) | instskip(NEXT) | instid1(VALU_DEP_1)
	v_dual_mov_b32 v6, v4 :: v_dual_add_nc_u32 v7, 1, v5
	v_cndmask_b32_e32 v5, v5, v7, vcc_lo
; %bb.7:                                ;   in Loop: Header=BB16_3 Depth=1
	s_or_b32 exec_lo, exec_lo, s0
	s_delay_alu instid0(VALU_DEP_2) | instskip(NEXT) | instid1(VALU_DEP_2)
	v_mul_lo_u32 v9, v6, s2
	v_mul_lo_u32 v10, v5, s3
	v_mad_u64_u32 v[7:8], null, v5, s2, 0
	s_cmpk_lt_i32 s6, 0x7a
	s_delay_alu instid0(VALU_DEP_1) | instskip(NEXT) | instid1(VALU_DEP_2)
	v_add3_u32 v8, v8, v10, v9
	v_sub_co_u32 v7, vcc_lo, v0, v7
	s_delay_alu instid0(VALU_DEP_2)
	v_sub_co_ci_u32_e32 v8, vcc_lo, v1, v8, vcc_lo
	s_cbranch_scc1 .LBB16_10
; %bb.8:                                ;   in Loop: Header=BB16_3 Depth=1
	s_mov_b32 s0, 0
	s_cmpk_eq_i32 s6, 0x7a
	s_mov_b32 s21, 0
                                        ; implicit-def: $vgpr9_vgpr10
	s_cbranch_scc0 .LBB16_11
; %bb.9:                                ;   in Loop: Header=BB16_3 Depth=1
	v_lshlrev_b64 v[9:10], 3, v[7:8]
	s_mov_b32 s21, -1
	s_delay_alu instid0(VALU_DEP_1) | instskip(NEXT) | instid1(VALU_DEP_2)
	v_sub_co_u32 v14, vcc_lo, s1, v9
	v_sub_co_ci_u32_e32 v9, vcc_lo, s18, v10, vcc_lo
	s_delay_alu instid0(VALU_DEP_2) | instskip(NEXT) | instid1(VALU_DEP_2)
	v_cvt_f64_u32_e32 v[14:15], v14
	v_cvt_f64_u32_e32 v[9:10], v9
	s_delay_alu instid0(VALU_DEP_1) | instskip(NEXT) | instid1(VALU_DEP_1)
	v_ldexp_f64 v[9:10], v[9:10], 32
	v_add_f64 v[9:10], v[9:10], v[14:15]
	s_delay_alu instid0(VALU_DEP_1) | instskip(SKIP_1) | instid1(VALU_DEP_1)
	v_cmp_gt_f64_e32 vcc_lo, 0x10000000, v[9:10]
	v_cndmask_b32_e64 v14, 0, 1, vcc_lo
	v_lshlrev_b32_e32 v14, 8, v14
	s_delay_alu instid0(VALU_DEP_1) | instskip(NEXT) | instid1(VALU_DEP_1)
	v_ldexp_f64 v[9:10], v[9:10], v14
	v_rsq_f64_e32 v[14:15], v[9:10]
	s_waitcnt_depctr 0xfff
	v_mul_f64 v[16:17], v[9:10], v[14:15]
	v_mul_f64 v[14:15], v[14:15], 0.5
	s_delay_alu instid0(VALU_DEP_1) | instskip(NEXT) | instid1(VALU_DEP_1)
	v_fma_f64 v[18:19], -v[14:15], v[16:17], 0.5
	v_fma_f64 v[16:17], v[16:17], v[18:19], v[16:17]
	v_fma_f64 v[14:15], v[14:15], v[18:19], v[14:15]
	s_delay_alu instid0(VALU_DEP_2) | instskip(NEXT) | instid1(VALU_DEP_1)
	v_fma_f64 v[18:19], -v[16:17], v[16:17], v[9:10]
	v_fma_f64 v[16:17], v[18:19], v[14:15], v[16:17]
	s_delay_alu instid0(VALU_DEP_1) | instskip(NEXT) | instid1(VALU_DEP_1)
	v_fma_f64 v[18:19], -v[16:17], v[16:17], v[9:10]
	v_fma_f64 v[14:15], v[18:19], v[14:15], v[16:17]
	v_cndmask_b32_e64 v16, 0, 0xffffff80, vcc_lo
	v_cmp_class_f64_e64 vcc_lo, v[9:10], 0x260
	v_mul_lo_u32 v17, v5, s5
	s_delay_alu instid0(VALU_DEP_3) | instskip(SKIP_1) | instid1(VALU_DEP_2)
	v_ldexp_f64 v[14:15], v[14:15], v16
	v_mul_lo_u32 v16, v6, s4
	v_dual_cndmask_b32 v10, v15, v10 :: v_dual_cndmask_b32 v9, v14, v9
	s_delay_alu instid0(VALU_DEP_1) | instskip(NEXT) | instid1(VALU_DEP_1)
	v_fma_f64 v[9:10], v[9:10], 0.5, -0.5
	v_floor_f64_e32 v[9:10], v[9:10]
	s_delay_alu instid0(VALU_DEP_1) | instskip(NEXT) | instid1(VALU_DEP_1)
	v_add_f64 v[9:10], v[2:3], -v[9:10]
	v_trunc_f64_e32 v[9:10], v[9:10]
	s_delay_alu instid0(VALU_DEP_1) | instskip(NEXT) | instid1(VALU_DEP_1)
	v_ldexp_f64 v[14:15], v[9:10], 0xffffffe0
	v_floor_f64_e32 v[14:15], v[14:15]
	s_delay_alu instid0(VALU_DEP_1) | instskip(SKIP_1) | instid1(VALU_DEP_2)
	v_fma_f64 v[9:10], 0xc1f00000, v[14:15], v[9:10]
	v_cvt_u32_f64_e32 v15, v[14:15]
	v_cvt_u32_f64_e32 v14, v[9:10]
	v_mad_u64_u32 v[9:10], null, v5, s4, 0
	s_delay_alu instid0(VALU_DEP_3) | instskip(NEXT) | instid1(VALU_DEP_2)
	v_mul_lo_u32 v20, v15, s10
	v_add3_u32 v10, v10, v17, v16
	s_delay_alu instid0(VALU_DEP_1) | instskip(SKIP_4) | instid1(VALU_DEP_4)
	v_lshlrev_b64 v[9:10], 2, v[9:10]
	v_sub_co_u32 v22, vcc_lo, s7, v14
	v_sub_co_ci_u32_e32 v21, vcc_lo, s17, v15, vcc_lo
	v_mul_lo_u32 v23, v14, s11
	v_mad_u64_u32 v[16:17], null, v14, s10, 0
	v_add_co_u32 v24, vcc_lo, v22, -1
	s_delay_alu instid0(VALU_DEP_4) | instskip(SKIP_1) | instid1(VALU_DEP_4)
	v_add_co_ci_u32_e32 v25, vcc_lo, -1, v21, vcc_lo
	v_sub_co_u32 v18, vcc_lo, v7, s12
	v_add3_u32 v17, v17, v23, v20
	s_delay_alu instid0(VALU_DEP_3)
	v_mul_lo_u32 v23, v25, v22
	v_mul_lo_u32 v25, v24, v21
	v_mad_u64_u32 v[20:21], null, v24, v22, 0
	v_subrev_co_ci_u32_e32 v19, vcc_lo, s13, v8, vcc_lo
	v_lshlrev_b64 v[16:17], 2, v[16:17]
	v_add_co_u32 v9, vcc_lo, s14, v9
	v_add_co_ci_u32_e32 v10, vcc_lo, s16, v10, vcc_lo
	s_delay_alu instid0(VALU_DEP_4) | instskip(SKIP_1) | instid1(VALU_DEP_4)
	v_lshlrev_b64 v[18:19], 2, v[18:19]
	v_add3_u32 v21, v21, v25, v23
	v_add_co_u32 v16, vcc_lo, v9, v16
	s_delay_alu instid0(VALU_DEP_4) | instskip(NEXT) | instid1(VALU_DEP_3)
	v_add_co_ci_u32_e32 v17, vcc_lo, v10, v17, vcc_lo
	v_lshlrev_b64 v[9:10], 1, v[20:21]
	v_lshlrev_b64 v[14:15], 2, v[14:15]
	s_delay_alu instid0(VALU_DEP_4) | instskip(NEXT) | instid1(VALU_DEP_4)
	v_add_co_u32 v16, vcc_lo, v16, v18
	v_add_co_ci_u32_e32 v17, vcc_lo, v17, v19, vcc_lo
	s_delay_alu instid0(VALU_DEP_4) | instskip(NEXT) | instid1(VALU_DEP_3)
	v_and_b32_e32 v9, -4, v9
	v_add_co_u32 v14, vcc_lo, v16, v14
	s_delay_alu instid0(VALU_DEP_3) | instskip(NEXT) | instid1(VALU_DEP_2)
	v_add_co_ci_u32_e32 v15, vcc_lo, v17, v15, vcc_lo
	v_add_co_u32 v9, vcc_lo, v14, v9
	s_delay_alu instid0(VALU_DEP_2) | instskip(NEXT) | instid1(VALU_DEP_2)
	v_add_co_ci_u32_e32 v10, vcc_lo, v15, v10, vcc_lo
	v_add_co_u32 v9, vcc_lo, v9, 4
	s_delay_alu instid0(VALU_DEP_2)
	v_add_co_ci_u32_e32 v10, vcc_lo, 0, v10, vcc_lo
	s_branch .LBB16_11
.LBB16_10:                              ;   in Loop: Header=BB16_3 Depth=1
	s_mov_b32 s0, -1
	s_mov_b32 s21, 0
                                        ; implicit-def: $vgpr9_vgpr10
.LBB16_11:                              ;   in Loop: Header=BB16_3 Depth=1
	s_and_b32 vcc_lo, exec_lo, s0
	s_cbranch_vccz .LBB16_14
; %bb.12:                               ;   in Loop: Header=BB16_3 Depth=1
	s_cmpk_eq_i32 s6, 0x79
                                        ; implicit-def: $vgpr9_vgpr10
	s_cbranch_scc0 .LBB16_14
; %bb.13:                               ;   in Loop: Header=BB16_3 Depth=1
	v_lshlrev_b64 v[9:10], 3, v[7:8]
	s_mov_b32 s21, -1
	s_delay_alu instid0(VALU_DEP_1) | instskip(NEXT) | instid1(VALU_DEP_2)
	v_cvt_f64_u32_e32 v[14:15], v10
	v_or_b32_e32 v9, 1, v9
	s_delay_alu instid0(VALU_DEP_1) | instskip(NEXT) | instid1(VALU_DEP_3)
	v_cvt_f64_u32_e32 v[9:10], v9
	v_ldexp_f64 v[14:15], v[14:15], 32
	s_delay_alu instid0(VALU_DEP_1) | instskip(NEXT) | instid1(VALU_DEP_1)
	v_add_f64 v[9:10], v[14:15], v[9:10]
	v_cmp_gt_f64_e32 vcc_lo, 0x10000000, v[9:10]
	v_cndmask_b32_e64 v14, 0, 1, vcc_lo
	s_delay_alu instid0(VALU_DEP_1) | instskip(NEXT) | instid1(VALU_DEP_1)
	v_lshlrev_b32_e32 v14, 8, v14
	v_ldexp_f64 v[9:10], v[9:10], v14
	s_delay_alu instid0(VALU_DEP_1) | instskip(SKIP_3) | instid1(VALU_DEP_1)
	v_rsq_f64_e32 v[14:15], v[9:10]
	s_waitcnt_depctr 0xfff
	v_mul_f64 v[16:17], v[9:10], v[14:15]
	v_mul_f64 v[14:15], v[14:15], 0.5
	v_fma_f64 v[18:19], -v[14:15], v[16:17], 0.5
	s_delay_alu instid0(VALU_DEP_1) | instskip(SKIP_1) | instid1(VALU_DEP_2)
	v_fma_f64 v[16:17], v[16:17], v[18:19], v[16:17]
	v_fma_f64 v[14:15], v[14:15], v[18:19], v[14:15]
	v_fma_f64 v[18:19], -v[16:17], v[16:17], v[9:10]
	s_delay_alu instid0(VALU_DEP_1) | instskip(NEXT) | instid1(VALU_DEP_1)
	v_fma_f64 v[16:17], v[18:19], v[14:15], v[16:17]
	v_fma_f64 v[18:19], -v[16:17], v[16:17], v[9:10]
	s_delay_alu instid0(VALU_DEP_1) | instskip(SKIP_4) | instid1(VALU_DEP_4)
	v_fma_f64 v[14:15], v[18:19], v[14:15], v[16:17]
	v_cndmask_b32_e64 v16, 0, 0xffffff80, vcc_lo
	v_cmp_class_f64_e64 vcc_lo, v[9:10], 0x260
	v_mul_lo_u32 v17, v6, s4
	v_mul_lo_u32 v18, v5, s5
	v_ldexp_f64 v[14:15], v[14:15], v16
	s_delay_alu instid0(VALU_DEP_1) | instskip(NEXT) | instid1(VALU_DEP_1)
	v_dual_cndmask_b32 v10, v15, v10 :: v_dual_cndmask_b32 v9, v14, v9
	v_add_f64 v[9:10], v[9:10], -1.0
	s_delay_alu instid0(VALU_DEP_1) | instskip(NEXT) | instid1(VALU_DEP_1)
	v_mul_f64 v[9:10], v[9:10], 0.5
	v_trunc_f64_e32 v[9:10], v[9:10]
	s_delay_alu instid0(VALU_DEP_1) | instskip(NEXT) | instid1(VALU_DEP_1)
	v_ldexp_f64 v[14:15], v[9:10], 0xffffffe0
	v_floor_f64_e32 v[14:15], v[14:15]
	s_delay_alu instid0(VALU_DEP_1) | instskip(SKIP_1) | instid1(VALU_DEP_2)
	v_fma_f64 v[9:10], 0xc1f00000, v[14:15], v[9:10]
	v_cvt_u32_f64_e32 v15, v[14:15]
	v_cvt_u32_f64_e32 v14, v[9:10]
	v_mad_u64_u32 v[9:10], null, v5, s4, 0
	s_delay_alu instid0(VALU_DEP_3) | instskip(NEXT) | instid1(VALU_DEP_2)
	v_mul_lo_u32 v20, s10, v15
	v_add3_u32 v10, v10, v18, v17
	s_delay_alu instid0(VALU_DEP_1) | instskip(SKIP_4) | instid1(VALU_DEP_3)
	v_lshlrev_b64 v[9:10], 2, v[9:10]
	v_mad_u64_u32 v[5:6], null, v14, v14, v[14:15]
	v_mul_lo_u32 v19, v14, v15
	v_mul_lo_u32 v21, s11, v14
	v_mad_u64_u32 v[15:16], null, s10, v14, s[10:11]
	v_add3_u32 v6, v19, v6, v19
	s_delay_alu instid0(VALU_DEP_2) | instskip(NEXT) | instid1(VALU_DEP_2)
	v_add3_u32 v16, v21, v16, v20
	v_lshrrev_b64 v[5:6], 1, v[5:6]
	s_delay_alu instid0(VALU_DEP_2) | instskip(NEXT) | instid1(VALU_DEP_2)
	v_lshlrev_b64 v[14:15], 2, v[15:16]
	v_sub_co_u32 v5, vcc_lo, v7, v5
	s_delay_alu instid0(VALU_DEP_3) | instskip(SKIP_2) | instid1(VALU_DEP_3)
	v_sub_co_ci_u32_e32 v6, vcc_lo, v8, v6, vcc_lo
	v_add_co_u32 v7, vcc_lo, s14, v9
	v_add_co_ci_u32_e32 v8, vcc_lo, s16, v10, vcc_lo
	v_lshlrev_b64 v[5:6], 2, v[5:6]
	s_delay_alu instid0(VALU_DEP_3) | instskip(NEXT) | instid1(VALU_DEP_3)
	v_add_co_u32 v7, vcc_lo, v7, v14
	v_add_co_ci_u32_e32 v8, vcc_lo, v8, v15, vcc_lo
	s_delay_alu instid0(VALU_DEP_2) | instskip(NEXT) | instid1(VALU_DEP_2)
	v_add_co_u32 v9, vcc_lo, v7, v5
	v_add_co_ci_u32_e32 v10, vcc_lo, v8, v6, vcc_lo
.LBB16_14:                              ;   in Loop: Header=BB16_3 Depth=1
	s_and_b32 vcc_lo, exec_lo, s21
	s_cbranch_vccz .LBB16_2
; %bb.15:                               ;   in Loop: Header=BB16_3 Depth=1
	global_store_b32 v[9:10], v4, off
	s_branch .LBB16_2
.LBB16_16:
	s_nop 0
	s_sendmsg sendmsg(MSG_DEALLOC_VGPRS)
	s_endpgm
	.section	.rodata,"a",@progbits
	.p2align	6, 0x0
	.amdhsa_kernel _ZL18rocblas_trtri_fillILi128EfPKPfEvP15_rocblas_handle13rocblas_fill_ililT1_llii
		.amdhsa_group_segment_fixed_size 0
		.amdhsa_private_segment_fixed_size 0
		.amdhsa_kernarg_size 328
		.amdhsa_user_sgpr_count 14
		.amdhsa_user_sgpr_dispatch_ptr 0
		.amdhsa_user_sgpr_queue_ptr 0
		.amdhsa_user_sgpr_kernarg_segment_ptr 1
		.amdhsa_user_sgpr_dispatch_id 0
		.amdhsa_user_sgpr_private_segment_size 0
		.amdhsa_wavefront_size32 1
		.amdhsa_uses_dynamic_stack 0
		.amdhsa_enable_private_segment 0
		.amdhsa_system_sgpr_workgroup_id_x 1
		.amdhsa_system_sgpr_workgroup_id_y 0
		.amdhsa_system_sgpr_workgroup_id_z 1
		.amdhsa_system_sgpr_workgroup_info 0
		.amdhsa_system_vgpr_workitem_id 0
		.amdhsa_next_free_vgpr 26
		.amdhsa_next_free_sgpr 23
		.amdhsa_reserve_vcc 1
		.amdhsa_float_round_mode_32 0
		.amdhsa_float_round_mode_16_64 0
		.amdhsa_float_denorm_mode_32 3
		.amdhsa_float_denorm_mode_16_64 3
		.amdhsa_dx10_clamp 1
		.amdhsa_ieee_mode 1
		.amdhsa_fp16_overflow 0
		.amdhsa_workgroup_processor_mode 1
		.amdhsa_memory_ordered 1
		.amdhsa_forward_progress 0
		.amdhsa_shared_vgpr_count 0
		.amdhsa_exception_fp_ieee_invalid_op 0
		.amdhsa_exception_fp_denorm_src 0
		.amdhsa_exception_fp_ieee_div_zero 0
		.amdhsa_exception_fp_ieee_overflow 0
		.amdhsa_exception_fp_ieee_underflow 0
		.amdhsa_exception_fp_ieee_inexact 0
		.amdhsa_exception_int_div_zero 0
	.end_amdhsa_kernel
	.section	.text._ZL18rocblas_trtri_fillILi128EfPKPfEvP15_rocblas_handle13rocblas_fill_ililT1_llii,"axG",@progbits,_ZL18rocblas_trtri_fillILi128EfPKPfEvP15_rocblas_handle13rocblas_fill_ililT1_llii,comdat
.Lfunc_end16:
	.size	_ZL18rocblas_trtri_fillILi128EfPKPfEvP15_rocblas_handle13rocblas_fill_ililT1_llii, .Lfunc_end16-_ZL18rocblas_trtri_fillILi128EfPKPfEvP15_rocblas_handle13rocblas_fill_ililT1_llii
                                        ; -- End function
	.section	.AMDGPU.csdata,"",@progbits
; Kernel info:
; codeLenInByte = 2416
; NumSgprs: 25
; NumVgprs: 26
; ScratchSize: 0
; MemoryBound: 0
; FloatMode: 240
; IeeeMode: 1
; LDSByteSize: 0 bytes/workgroup (compile time only)
; SGPRBlocks: 3
; VGPRBlocks: 3
; NumSGPRsForWavesPerEU: 25
; NumVGPRsForWavesPerEU: 26
; Occupancy: 16
; WaveLimiterHint : 0
; COMPUTE_PGM_RSRC2:SCRATCH_EN: 0
; COMPUTE_PGM_RSRC2:USER_SGPR: 14
; COMPUTE_PGM_RSRC2:TRAP_HANDLER: 0
; COMPUTE_PGM_RSRC2:TGID_X_EN: 1
; COMPUTE_PGM_RSRC2:TGID_Y_EN: 0
; COMPUTE_PGM_RSRC2:TGID_Z_EN: 1
; COMPUTE_PGM_RSRC2:TIDIG_COMP_CNT: 0
	.section	.text._ZL26rocblas_trtri_small_kernelILi16EfPKPKfPKPfEv13rocblas_fill_17rocblas_diagonal_iT1_lillT2_lilli,"axG",@progbits,_ZL26rocblas_trtri_small_kernelILi16EfPKPKfPKPfEv13rocblas_fill_17rocblas_diagonal_iT1_lillT2_lilli,comdat
	.globl	_ZL26rocblas_trtri_small_kernelILi16EfPKPKfPKPfEv13rocblas_fill_17rocblas_diagonal_iT1_lillT2_lilli ; -- Begin function _ZL26rocblas_trtri_small_kernelILi16EfPKPKfPKPfEv13rocblas_fill_17rocblas_diagonal_iT1_lillT2_lilli
	.p2align	8
	.type	_ZL26rocblas_trtri_small_kernelILi16EfPKPKfPKPfEv13rocblas_fill_17rocblas_diagonal_iT1_lillT2_lilli,@function
_ZL26rocblas_trtri_small_kernelILi16EfPKPKfPKPfEv13rocblas_fill_17rocblas_diagonal_iT1_lillT2_lilli: ; @_ZL26rocblas_trtri_small_kernelILi16EfPKPKfPKPfEv13rocblas_fill_17rocblas_diagonal_iT1_lillT2_lilli
; %bb.0:
	s_load_b128 s[8:11], s[0:1], 0x0
	s_waitcnt lgkmcnt(0)
	s_cmp_lt_i32 s10, 1
	s_cbranch_scc1 .LBB17_46
; %bb.1:
	s_clause 0x1
	s_load_b128 s[16:19], s[0:1], 0x30
	s_load_b64 s[20:21], s[0:1], 0x40
	s_mov_b32 s2, s15
	s_mov_b32 s3, 0
	s_delay_alu instid0(SALU_CYCLE_1)
	s_lshl_b64 s[22:23], s[2:3], 3
	s_waitcnt lgkmcnt(0)
	s_add_u32 s2, s18, s22
	s_addc_u32 s3, s19, s23
	s_load_b64 s[12:13], s[2:3], 0x0
	v_cmp_le_u32_e64 s3, s10, v0
	v_cmp_gt_u32_e64 s2, s10, v0
	s_delay_alu instid0(VALU_DEP_1)
	s_and_saveexec_b32 s11, s2
	s_cbranch_execz .LBB17_14
; %bb.2:
	s_clause 0x1
	s_load_b128 s[4:7], s[0:1], 0x10
	s_load_b32 s18, s[0:1], 0x20
	s_waitcnt lgkmcnt(0)
	s_add_u32 s4, s4, s22
	s_addc_u32 s5, s5, s23
	s_load_b64 s[22:23], s[4:5], 0x0
	s_mul_i32 s4, s14, s17
	s_mul_hi_u32 s5, s14, s16
	s_mul_i32 s16, s14, s16
	s_add_i32 s17, s5, s4
	s_cmpk_lg_i32 s8, 0x7a
	s_mov_b32 s4, -1
	s_cbranch_scc0 .LBB17_6
; %bb.3:
	s_ashr_i32 s19, s18, 31
	s_lshl_b32 s5, s10, 2
	s_ashr_i32 s4, s10, 31
	s_add_u32 s15, s10, -1
	s_addc_u32 s4, s4, -1
	s_mul_i32 s24, s15, s19
	s_mul_hi_u32 s25, s15, s18
	s_mul_i32 s4, s4, s18
	s_add_i32 s24, s25, s24
	s_lshl_b64 s[26:27], s[16:17], 2
	s_add_i32 s25, s24, s4
	s_mul_i32 s24, s15, s18
	v_lshlrev_b32_e32 v1, 2, v0
	s_lshl_b64 s[24:25], s[24:25], 2
	s_delay_alu instid0(SALU_CYCLE_1)
	s_add_u32 s4, s24, s26
	s_addc_u32 s15, s25, s27
	s_lshl_b64 s[24:25], s[6:7], 2
	v_sub_nc_u32_e32 v2, s5, v1
	s_add_u32 s4, s4, s24
	s_addc_u32 s15, s15, s25
	s_waitcnt lgkmcnt(0)
	s_add_u32 s4, s22, s4
	s_addc_u32 s15, s23, s15
	v_add_co_u32 v1, s4, s4, v1
	v_add_nc_u32_e32 v3, -4, v2
	s_lshl_b64 s[24:25], s[18:19], 2
	v_add_co_ci_u32_e64 v2, null, s15, 0, s4
	s_sub_u32 s15, 0, s24
	s_subb_u32 s24, 0, s25
	s_mov_b32 s19, 0
	s_mov_b32 s25, s10
.LBB17_4:                               ; =>This Inner Loop Header: Depth=1
	global_load_b32 v4, v[1:2], off
	s_add_i32 s25, s25, -1
	v_add_co_u32 v1, vcc_lo, v1, s15
	v_cmp_le_i32_e64 s4, s25, v0
	v_add_co_ci_u32_e32 v2, vcc_lo, s24, v2, vcc_lo
	s_delay_alu instid0(VALU_DEP_2)
	s_or_b32 s19, s4, s19
	s_waitcnt vmcnt(0)
	ds_store_b32 v3, v4
	v_add_nc_u32_e32 v3, s5, v3
	s_and_not1_b32 exec_lo, exec_lo, s19
	s_cbranch_execnz .LBB17_4
; %bb.5:
	s_or_b32 exec_lo, exec_lo, s19
	s_mov_b32 s4, 0
.LBB17_6:
	s_delay_alu instid0(SALU_CYCLE_1)
	s_and_b32 vcc_lo, exec_lo, s4
	s_cbranch_vccz .LBB17_14
; %bb.7:
	v_dual_mov_b32 v3, 0 :: v_dual_add_nc_u32 v4, 1, v0
	s_ashr_i32 s19, s18, 31
	s_mov_b32 s5, exec_lo
	v_cmpx_lt_u32_e32 2, v0
	s_cbranch_execz .LBB17_11
; %bb.8:
	s_lshl_b64 s[24:25], s[6:7], 2
	v_lshlrev_b32_e32 v5, 2, v0
	s_waitcnt lgkmcnt(0)
	s_add_u32 s4, s22, s24
	s_addc_u32 s15, s23, s25
	s_lshl_b64 s[24:25], s[16:17], 2
	v_and_b32_e32 v3, 28, v4
	s_add_u32 s4, s4, s24
	s_addc_u32 s15, s15, s25
	v_add_co_u32 v1, s4, s4, v5
	s_delay_alu instid0(VALU_DEP_1)
	v_add_co_ci_u32_e64 v2, null, s15, 0, s4
	s_mul_hi_i32 s15, s18, 12
	s_mul_i32 s30, s18, 12
	s_lshl_b64 s[24:25], s[18:19], 4
	s_lshl_b64 s[26:27], s[18:19], 3
	;; [unrolled: 1-line block ×3, first 2 shown]
	s_lshl_b32 s31, s10, 2
	s_lshl_b32 s33, s10, 4
	;; [unrolled: 1-line block ×3, first 2 shown]
	s_mul_i32 s36, s10, 12
	s_mov_b32 s35, 0
	s_mov_b32 s37, 0
	s_set_inst_prefetch_distance 0x1
	.p2align	6
.LBB17_9:                               ; =>This Inner Loop Header: Depth=1
	v_add_co_u32 v6, vcc_lo, v1, s28
	v_add_co_ci_u32_e32 v7, vcc_lo, s29, v2, vcc_lo
	v_add_co_u32 v8, vcc_lo, v1, s26
	v_add_co_ci_u32_e32 v9, vcc_lo, s27, v2, vcc_lo
	;; [unrolled: 2-line block ×3, first 2 shown]
	s_clause 0x3
	global_load_b32 v12, v[1:2], off
	global_load_b32 v6, v[6:7], off
	;; [unrolled: 1-line block ×4, first 2 shown]
	s_add_i32 s37, s37, 4
	v_add_co_u32 v1, s4, v1, s24
	v_cmp_eq_u32_e32 vcc_lo, s37, v3
	v_add_nc_u32_e32 v9, s31, v5
	v_add_nc_u32_e32 v10, s34, v5
	v_add_nc_u32_e32 v11, s36, v5
	v_add_co_ci_u32_e64 v2, s4, s25, v2, s4
	s_or_b32 s35, vcc_lo, s35
	s_waitcnt vmcnt(3)
	ds_store_b32 v5, v12
	v_add_nc_u32_e32 v5, s33, v5
	s_waitcnt vmcnt(2)
	ds_store_b32 v9, v6
	s_waitcnt vmcnt(1)
	ds_store_b32 v10, v7
	;; [unrolled: 2-line block ×3, first 2 shown]
	s_and_not1_b32 exec_lo, exec_lo, s35
	s_cbranch_execnz .LBB17_9
; %bb.10:
	s_set_inst_prefetch_distance 0x2
	s_or_b32 exec_lo, exec_lo, s35
.LBB17_11:
	s_delay_alu instid0(SALU_CYCLE_1) | instskip(SKIP_2) | instid1(VALU_DEP_1)
	s_or_b32 exec_lo, exec_lo, s5
	v_and_b32_e32 v4, 3, v4
	s_mov_b32 s5, 0
	v_cmp_ne_u32_e32 vcc_lo, 0, v4
	s_and_b32 exec_lo, exec_lo, vcc_lo
	s_cbranch_execz .LBB17_14
; %bb.12:
	v_mad_i64_i32 v[1:2], null, s18, v3, 0
	s_lshl_b64 s[16:17], s[16:17], 2
	s_lshl_b64 s[6:7], s[6:7], 2
	s_lshl_b32 s15, s10, 2
	s_add_u32 s4, s6, s16
	v_lshlrev_b32_e32 v5, 2, v0
	s_addc_u32 s6, s7, s17
	s_delay_alu instid0(VALU_DEP_2) | instskip(SKIP_1) | instid1(VALU_DEP_2)
	v_lshlrev_b64 v[1:2], 2, v[1:2]
	v_mul_lo_u32 v3, v3, s10
	v_add_co_u32 v1, vcc_lo, s4, v1
	s_delay_alu instid0(VALU_DEP_3) | instskip(NEXT) | instid1(VALU_DEP_3)
	v_add_co_ci_u32_e32 v2, vcc_lo, s6, v2, vcc_lo
	v_add_lshl_u32 v3, v0, v3, 2
	s_delay_alu instid0(VALU_DEP_3) | instskip(NEXT) | instid1(VALU_DEP_3)
	v_add_co_u32 v1, vcc_lo, v1, v5
	v_add_co_ci_u32_e32 v2, vcc_lo, 0, v2, vcc_lo
	s_lshl_b64 s[6:7], s[18:19], 2
	s_waitcnt lgkmcnt(0)
	s_delay_alu instid0(VALU_DEP_2) | instskip(NEXT) | instid1(VALU_DEP_2)
	v_add_co_u32 v1, vcc_lo, s22, v1
	v_add_co_ci_u32_e32 v2, vcc_lo, s23, v2, vcc_lo
.LBB17_13:                              ; =>This Inner Loop Header: Depth=1
	global_load_b32 v5, v[1:2], off
	v_add_nc_u32_e32 v4, -1, v4
	v_add_co_u32 v1, vcc_lo, v1, s6
	v_add_co_ci_u32_e32 v2, vcc_lo, s7, v2, vcc_lo
	s_delay_alu instid0(VALU_DEP_3) | instskip(NEXT) | instid1(VALU_DEP_1)
	v_cmp_eq_u32_e64 s4, 0, v4
	s_or_b32 s5, s4, s5
	s_waitcnt vmcnt(0)
	ds_store_b32 v3, v5
	v_add_nc_u32_e32 v3, s15, v3
	s_and_not1_b32 exec_lo, exec_lo, s5
	s_cbranch_execnz .LBB17_13
.LBB17_14:
	s_or_b32 exec_lo, exec_lo, s11
	s_waitcnt vmcnt(0) lgkmcnt(0)
	s_waitcnt_vscnt null, 0x0
	; wave barrier
	s_waitcnt lgkmcnt(0)
	buffer_gl0_inv
                                        ; implicit-def: $vgpr1
	s_and_saveexec_b32 s4, s3
	s_delay_alu instid0(SALU_CYCLE_1)
	s_xor_b32 s3, exec_lo, s4
; %bb.15:
	v_mad_u64_u32 v[1:2], null, v0, s10, v[0:1]
; %bb.16:
	s_and_not1_saveexec_b32 s3, s3
	s_cbranch_execz .LBB17_22
; %bb.17:
	s_delay_alu instid0(VALU_DEP_1) | instskip(SKIP_2) | instid1(VALU_DEP_2)
	v_mad_u64_u32 v[1:2], null, v0, s10, v[0:1]
	v_mov_b32_e32 v4, 1.0
	s_cmpk_eq_i32 s9, 0x84
	v_lshlrev_b32_e32 v2, 2, v1
	s_cbranch_scc1 .LBB17_21
; %bb.18:
	ds_load_b32 v3, v2
	v_mov_b32_e32 v4, 1.0
	s_mov_b32 s4, exec_lo
	s_waitcnt lgkmcnt(0)
	v_cmpx_neq_f32_e32 0, v3
; %bb.19:
	v_div_scale_f32 v4, null, v3, v3, 1.0
	s_delay_alu instid0(VALU_DEP_1) | instskip(SKIP_2) | instid1(VALU_DEP_1)
	v_rcp_f32_e32 v5, v4
	s_waitcnt_depctr 0xfff
	v_fma_f32 v6, -v4, v5, 1.0
	v_fmac_f32_e32 v5, v6, v5
	v_div_scale_f32 v6, vcc_lo, 1.0, v3, 1.0
	s_delay_alu instid0(VALU_DEP_1) | instskip(NEXT) | instid1(VALU_DEP_1)
	v_mul_f32_e32 v7, v6, v5
	v_fma_f32 v8, -v4, v7, v6
	s_delay_alu instid0(VALU_DEP_1) | instskip(NEXT) | instid1(VALU_DEP_1)
	v_fmac_f32_e32 v7, v8, v5
	v_fma_f32 v4, -v4, v7, v6
	s_delay_alu instid0(VALU_DEP_1) | instskip(NEXT) | instid1(VALU_DEP_1)
	v_div_fmas_f32 v4, v4, v5, v7
	v_div_fixup_f32 v4, v4, v3, 1.0
; %bb.20:
	s_or_b32 exec_lo, exec_lo, s4
.LBB17_21:
	ds_store_b32 v2, v4
.LBB17_22:
	s_or_b32 exec_lo, exec_lo, s3
	s_delay_alu instid0(VALU_DEP_1)
	v_lshlrev_b32_e32 v1, 2, v1
	v_add_lshl_u32 v2, v0, s10, 2
	s_lshl_b32 s11, s10, 2
	s_mov_b32 s3, 4
	s_add_i32 s4, s11, 4
	s_mov_b32 s5, 0
	s_waitcnt vmcnt(0) lgkmcnt(0)
	s_waitcnt_vscnt null, 0x0
	; wave barrier
	s_waitcnt lgkmcnt(0)
	buffer_gl0_inv
	s_branch .LBB17_24
.LBB17_23:                              ;   in Loop: Header=BB17_24 Depth=1
	s_set_inst_prefetch_distance 0x2
	v_add_nc_u32_e32 v2, s11, v2
	s_add_i32 s3, s3, s4
	s_cmp_eq_u32 s5, s10
	s_waitcnt vmcnt(0) lgkmcnt(0)
	s_waitcnt_vscnt null, 0x0
	; wave barrier
	buffer_gl0_inv
	s_cbranch_scc1 .LBB17_33
.LBB17_24:                              ; =>This Loop Header: Depth=1
                                        ;     Child Loop BB17_29 Depth 2
	s_mul_i32 s7, s5, s10
	v_mov_b32_e32 v4, 0
	v_add_lshl_u32 v3, s7, v0, 2
	s_mov_b32 s6, exec_lo
	v_cmpx_lt_u32_e64 s5, v0
	s_cbranch_execz .LBB17_26
; %bb.25:                               ;   in Loop: Header=BB17_24 Depth=1
	s_add_i32 s7, s7, s5
	s_delay_alu instid0(SALU_CYCLE_1) | instskip(NEXT) | instid1(SALU_CYCLE_1)
	s_lshl_b32 s7, s7, 2
	v_mov_b32_e32 v4, s7
	ds_load_b32 v5, v3
	ds_load_b32 v4, v4
	s_waitcnt lgkmcnt(0)
	v_fma_f32 v4, v5, v4, 0
.LBB17_26:                              ;   in Loop: Header=BB17_24 Depth=1
	s_or_b32 exec_lo, exec_lo, s6
	s_add_i32 s5, s5, 1
	s_delay_alu instid0(SALU_CYCLE_1)
	s_cmp_ge_i32 s5, s10
	; wave barrier
	buffer_gl0_inv
	s_cbranch_scc1 .LBB17_23
; %bb.27:                               ;   in Loop: Header=BB17_24 Depth=1
	v_mov_b32_e32 v5, v2
	s_mov_b32 s6, s3
	s_mov_b32 s7, s5
	s_set_inst_prefetch_distance 0x1
	s_branch .LBB17_29
	.p2align	6
.LBB17_28:                              ;   in Loop: Header=BB17_29 Depth=2
	s_or_b32 exec_lo, exec_lo, s9
	v_add_nc_u32_e32 v5, s11, v5
	s_add_i32 s7, s7, 1
	s_add_i32 s6, s6, 4
	s_cmp_ge_i32 s7, s10
	s_waitcnt vmcnt(0) lgkmcnt(0)
	s_waitcnt_vscnt null, 0x0
	; wave barrier
	buffer_gl0_inv
	s_cbranch_scc1 .LBB17_23
.LBB17_29:                              ;   Parent Loop BB17_24 Depth=1
                                        ; =>  This Inner Loop Header: Depth=2
	s_mov_b32 s9, exec_lo
	v_cmpx_eq_u32_e64 s7, v0
	s_cbranch_execz .LBB17_31
; %bb.30:                               ;   in Loop: Header=BB17_29 Depth=2
	ds_load_b32 v6, v1
	s_waitcnt lgkmcnt(0)
	v_mul_f32_e64 v6, -v4, v6
	ds_store_b32 v3, v6
.LBB17_31:                              ;   in Loop: Header=BB17_29 Depth=2
	s_or_b32 exec_lo, exec_lo, s9
	s_delay_alu instid0(SALU_CYCLE_1)
	s_mov_b32 s9, exec_lo
	s_waitcnt vmcnt(0) lgkmcnt(0)
	s_waitcnt_vscnt null, 0x0
	; wave barrier
	s_waitcnt lgkmcnt(0)
	buffer_gl0_inv
	v_cmpx_lt_u32_e64 s7, v0
	s_cbranch_execz .LBB17_28
; %bb.32:                               ;   in Loop: Header=BB17_29 Depth=2
	v_mov_b32_e32 v6, s6
	ds_load_b32 v7, v5
	ds_load_b32 v6, v6
	s_waitcnt lgkmcnt(0)
	v_fmac_f32_e32 v4, v7, v6
	s_branch .LBB17_28
.LBB17_33:
	s_and_saveexec_b32 s3, s2
	s_cbranch_execz .LBB17_46
; %bb.34:
	s_clause 0x1
	s_load_b64 s[4:5], s[0:1], 0x58
	s_load_b32 s2, s[0:1], 0x48
	v_lshlrev_b32_e32 v3, 2, v0
	s_waitcnt lgkmcnt(0)
	s_mul_i32 s0, s14, s5
	s_mul_hi_u32 s1, s14, s4
	s_mul_i32 s4, s14, s4
	s_add_i32 s5, s1, s0
	s_cmpk_lg_i32 s8, 0x7a
	s_mov_b32 s0, -1
	s_cbranch_scc0 .LBB17_38
; %bb.35:
	s_add_i32 s0, s10, -1
	s_ashr_i32 s3, s2, 31
	s_mul_hi_u32 s6, s2, s0
	s_mul_i32 s1, s3, s0
	s_mul_i32 s0, s2, s0
	s_add_i32 s1, s6, s1
	s_lshl_b64 s[6:7], s[4:5], 2
	s_lshl_b64 s[0:1], s[0:1], 2
	v_lshlrev_b32_e32 v1, 2, v0
	s_add_u32 s6, s6, s0
	s_addc_u32 s7, s7, s1
	s_lshl_b64 s[0:1], s[20:21], 2
	s_delay_alu instid0(SALU_CYCLE_1)
	s_add_u32 s0, s6, s0
	s_addc_u32 s1, s7, s1
	v_sub_nc_u32_e32 v4, s11, v1
	s_add_u32 s0, s12, s0
	s_addc_u32 s1, s13, s1
	v_add_co_u32 v1, s0, s0, v1
	s_lshl_b64 s[6:7], s[2:3], 2
	v_add_co_ci_u32_e64 v2, null, s1, 0, s0
	v_add_nc_u32_e32 v4, -4, v4
	s_sub_u32 s1, 0, s6
	s_subb_u32 s6, 0, s7
	s_mov_b32 s3, 0
	s_mov_b32 s7, s10
.LBB17_36:                              ; =>This Inner Loop Header: Depth=1
	ds_load_b32 v5, v4
	s_add_i32 s7, s7, -1
	v_add_nc_u32_e32 v4, s11, v4
	v_cmp_le_i32_e32 vcc_lo, s7, v0
	s_or_b32 s3, vcc_lo, s3
	s_waitcnt lgkmcnt(0)
	global_store_b32 v[1:2], v5, off
	v_add_co_u32 v1, s0, v1, s1
	s_delay_alu instid0(VALU_DEP_1)
	v_add_co_ci_u32_e64 v2, s0, s6, v2, s0
	s_and_not1_b32 exec_lo, exec_lo, s3
	s_cbranch_execnz .LBB17_36
; %bb.37:
	s_or_b32 exec_lo, exec_lo, s3
	s_mov_b32 s0, 0
.LBB17_38:
	s_delay_alu instid0(SALU_CYCLE_1)
	s_and_b32 vcc_lo, exec_lo, s0
	s_cbranch_vccz .LBB17_46
; %bb.39:
	v_dual_mov_b32 v4, 0 :: v_dual_add_nc_u32 v5, 1, v0
	s_ashr_i32 s3, s2, 31
	s_mov_b32 s1, exec_lo
	v_cmpx_lt_u32_e32 2, v0
	s_cbranch_execz .LBB17_43
; %bb.40:
	s_lshl_b64 s[6:7], s[20:21], 2
	v_and_b32_e32 v4, 28, v5
	s_add_u32 s0, s12, s6
	s_addc_u32 s8, s13, s7
	s_lshl_b64 s[6:7], s[4:5], 2
	v_mov_b32_e32 v6, v3
	s_add_u32 s0, s0, s6
	s_addc_u32 s6, s8, s7
	v_add_co_u32 v1, s0, s0, v3
	s_delay_alu instid0(VALU_DEP_1)
	v_add_co_ci_u32_e64 v2, null, s6, 0, s0
	s_mul_hi_i32 s16, s2, 12
	s_mul_i32 s17, s2, 12
	s_lshl_b64 s[6:7], s[2:3], 4
	s_lshl_b64 s[8:9], s[2:3], 3
	;; [unrolled: 1-line block ×3, first 2 shown]
	s_lshl_b32 s18, s10, 4
	s_lshl_b32 s19, s10, 3
	s_mul_i32 s23, s10, 12
	s_mov_b32 s22, 0
	s_mov_b32 s24, 0
	s_set_inst_prefetch_distance 0x1
	.p2align	6
.LBB17_41:                              ; =>This Inner Loop Header: Depth=1
	ds_load_b32 v13, v6
	v_add_nc_u32_e32 v9, s11, v6
	v_add_nc_u32_e32 v10, s19, v6
	;; [unrolled: 1-line block ×3, first 2 shown]
	v_add_co_u32 v7, vcc_lo, v1, s14
	ds_load_b32 v14, v9
	ds_load_b32 v15, v10
	;; [unrolled: 1-line block ×3, first 2 shown]
	v_add_co_ci_u32_e32 v8, vcc_lo, s15, v2, vcc_lo
	v_add_co_u32 v9, vcc_lo, v1, s8
	v_add_co_ci_u32_e32 v10, vcc_lo, s9, v2, vcc_lo
	v_add_co_u32 v11, vcc_lo, v1, s17
	s_add_i32 s24, s24, 4
	v_add_co_ci_u32_e32 v12, vcc_lo, s16, v2, vcc_lo
	v_cmp_eq_u32_e32 vcc_lo, s24, v4
	v_add_nc_u32_e32 v6, s18, v6
	s_waitcnt lgkmcnt(3)
	global_store_b32 v[1:2], v13, off
	v_add_co_u32 v1, s0, v1, s6
	s_delay_alu instid0(VALU_DEP_1)
	v_add_co_ci_u32_e64 v2, s0, s7, v2, s0
	s_or_b32 s22, vcc_lo, s22
	s_waitcnt lgkmcnt(2)
	global_store_b32 v[7:8], v14, off
	s_waitcnt lgkmcnt(1)
	global_store_b32 v[9:10], v15, off
	;; [unrolled: 2-line block ×3, first 2 shown]
	s_and_not1_b32 exec_lo, exec_lo, s22
	s_cbranch_execnz .LBB17_41
; %bb.42:
	s_set_inst_prefetch_distance 0x2
	s_or_b32 exec_lo, exec_lo, s22
.LBB17_43:
	s_delay_alu instid0(SALU_CYCLE_1) | instskip(SKIP_2) | instid1(VALU_DEP_1)
	s_or_b32 exec_lo, exec_lo, s1
	v_and_b32_e32 v5, 3, v5
	s_mov_b32 s1, 0
	v_cmp_ne_u32_e32 vcc_lo, 0, v5
	s_and_b32 exec_lo, exec_lo, vcc_lo
	s_cbranch_execz .LBB17_46
; %bb.44:
	v_mad_i64_i32 v[1:2], null, s2, v4, 0
	s_lshl_b64 s[4:5], s[4:5], 2
	s_lshl_b64 s[6:7], s[20:21], 2
	v_mul_lo_u32 v4, v4, s10
	s_add_u32 s0, s6, s4
	s_addc_u32 s4, s7, s5
	s_lshl_b64 s[2:3], s[2:3], 2
	s_delay_alu instid0(VALU_DEP_2) | instskip(NEXT) | instid1(VALU_DEP_2)
	v_lshlrev_b64 v[1:2], 2, v[1:2]
	v_add_lshl_u32 v0, v0, v4, 2
	s_delay_alu instid0(VALU_DEP_2) | instskip(NEXT) | instid1(VALU_DEP_3)
	v_add_co_u32 v1, vcc_lo, s0, v1
	v_add_co_ci_u32_e32 v2, vcc_lo, s4, v2, vcc_lo
	s_delay_alu instid0(VALU_DEP_2) | instskip(NEXT) | instid1(VALU_DEP_2)
	v_add_co_u32 v1, vcc_lo, v1, v3
	v_add_co_ci_u32_e32 v2, vcc_lo, 0, v2, vcc_lo
	s_delay_alu instid0(VALU_DEP_2) | instskip(NEXT) | instid1(VALU_DEP_2)
	v_add_co_u32 v1, vcc_lo, s12, v1
	v_add_co_ci_u32_e32 v2, vcc_lo, s13, v2, vcc_lo
.LBB17_45:                              ; =>This Inner Loop Header: Depth=1
	ds_load_b32 v3, v0
	v_add_nc_u32_e32 v5, -1, v5
	v_add_nc_u32_e32 v0, s11, v0
	s_delay_alu instid0(VALU_DEP_2) | instskip(SKIP_4) | instid1(VALU_DEP_1)
	v_cmp_eq_u32_e32 vcc_lo, 0, v5
	s_or_b32 s1, vcc_lo, s1
	s_waitcnt lgkmcnt(0)
	global_store_b32 v[1:2], v3, off
	v_add_co_u32 v1, s0, v1, s2
	v_add_co_ci_u32_e64 v2, s0, s3, v2, s0
	s_and_not1_b32 exec_lo, exec_lo, s1
	s_cbranch_execnz .LBB17_45
.LBB17_46:
	s_nop 0
	s_sendmsg sendmsg(MSG_DEALLOC_VGPRS)
	s_endpgm
	.section	.rodata,"a",@progbits
	.p2align	6, 0x0
	.amdhsa_kernel _ZL26rocblas_trtri_small_kernelILi16EfPKPKfPKPfEv13rocblas_fill_17rocblas_diagonal_iT1_lillT2_lilli
		.amdhsa_group_segment_fixed_size 1024
		.amdhsa_private_segment_fixed_size 0
		.amdhsa_kernarg_size 100
		.amdhsa_user_sgpr_count 14
		.amdhsa_user_sgpr_dispatch_ptr 0
		.amdhsa_user_sgpr_queue_ptr 0
		.amdhsa_user_sgpr_kernarg_segment_ptr 1
		.amdhsa_user_sgpr_dispatch_id 0
		.amdhsa_user_sgpr_private_segment_size 0
		.amdhsa_wavefront_size32 1
		.amdhsa_uses_dynamic_stack 0
		.amdhsa_enable_private_segment 0
		.amdhsa_system_sgpr_workgroup_id_x 1
		.amdhsa_system_sgpr_workgroup_id_y 0
		.amdhsa_system_sgpr_workgroup_id_z 1
		.amdhsa_system_sgpr_workgroup_info 0
		.amdhsa_system_vgpr_workitem_id 0
		.amdhsa_next_free_vgpr 17
		.amdhsa_next_free_sgpr 38
		.amdhsa_reserve_vcc 1
		.amdhsa_float_round_mode_32 0
		.amdhsa_float_round_mode_16_64 0
		.amdhsa_float_denorm_mode_32 3
		.amdhsa_float_denorm_mode_16_64 3
		.amdhsa_dx10_clamp 1
		.amdhsa_ieee_mode 1
		.amdhsa_fp16_overflow 0
		.amdhsa_workgroup_processor_mode 1
		.amdhsa_memory_ordered 1
		.amdhsa_forward_progress 0
		.amdhsa_shared_vgpr_count 0
		.amdhsa_exception_fp_ieee_invalid_op 0
		.amdhsa_exception_fp_denorm_src 0
		.amdhsa_exception_fp_ieee_div_zero 0
		.amdhsa_exception_fp_ieee_overflow 0
		.amdhsa_exception_fp_ieee_underflow 0
		.amdhsa_exception_fp_ieee_inexact 0
		.amdhsa_exception_int_div_zero 0
	.end_amdhsa_kernel
	.section	.text._ZL26rocblas_trtri_small_kernelILi16EfPKPKfPKPfEv13rocblas_fill_17rocblas_diagonal_iT1_lillT2_lilli,"axG",@progbits,_ZL26rocblas_trtri_small_kernelILi16EfPKPKfPKPfEv13rocblas_fill_17rocblas_diagonal_iT1_lillT2_lilli,comdat
.Lfunc_end17:
	.size	_ZL26rocblas_trtri_small_kernelILi16EfPKPKfPKPfEv13rocblas_fill_17rocblas_diagonal_iT1_lillT2_lilli, .Lfunc_end17-_ZL26rocblas_trtri_small_kernelILi16EfPKPKfPKPfEv13rocblas_fill_17rocblas_diagonal_iT1_lillT2_lilli
                                        ; -- End function
	.section	.AMDGPU.csdata,"",@progbits
; Kernel info:
; codeLenInByte = 2264
; NumSgprs: 40
; NumVgprs: 17
; ScratchSize: 0
; MemoryBound: 0
; FloatMode: 240
; IeeeMode: 1
; LDSByteSize: 1024 bytes/workgroup (compile time only)
; SGPRBlocks: 4
; VGPRBlocks: 2
; NumSGPRsForWavesPerEU: 40
; NumVGPRsForWavesPerEU: 17
; Occupancy: 16
; WaveLimiterHint : 0
; COMPUTE_PGM_RSRC2:SCRATCH_EN: 0
; COMPUTE_PGM_RSRC2:USER_SGPR: 14
; COMPUTE_PGM_RSRC2:TRAP_HANDLER: 0
; COMPUTE_PGM_RSRC2:TGID_X_EN: 1
; COMPUTE_PGM_RSRC2:TGID_Y_EN: 0
; COMPUTE_PGM_RSRC2:TGID_Z_EN: 1
; COMPUTE_PGM_RSRC2:TIDIG_COMP_CNT: 0
	.section	.text._ZL29rocblas_trtri_diagonal_kernelILi16EfPKPKfPKPfEv13rocblas_fill_17rocblas_diagonal_iT1_lillT2_lilli,"axG",@progbits,_ZL29rocblas_trtri_diagonal_kernelILi16EfPKPKfPKPfEv13rocblas_fill_17rocblas_diagonal_iT1_lillT2_lilli,comdat
	.globl	_ZL29rocblas_trtri_diagonal_kernelILi16EfPKPKfPKPfEv13rocblas_fill_17rocblas_diagonal_iT1_lillT2_lilli ; -- Begin function _ZL29rocblas_trtri_diagonal_kernelILi16EfPKPKfPKPfEv13rocblas_fill_17rocblas_diagonal_iT1_lillT2_lilli
	.p2align	8
	.type	_ZL29rocblas_trtri_diagonal_kernelILi16EfPKPKfPKPfEv13rocblas_fill_17rocblas_diagonal_iT1_lillT2_lilli,@function
_ZL29rocblas_trtri_diagonal_kernelILi16EfPKPKfPKPfEv13rocblas_fill_17rocblas_diagonal_iT1_lillT2_lilli: ; @_ZL29rocblas_trtri_diagonal_kernelILi16EfPKPKfPKPfEv13rocblas_fill_17rocblas_diagonal_iT1_lillT2_lilli
; %bb.0:
	s_load_b128 s[8:11], s[0:1], 0x0
	s_waitcnt lgkmcnt(0)
	s_ashr_i32 s3, s10, 31
	s_delay_alu instid0(SALU_CYCLE_1) | instskip(NEXT) | instid1(SALU_CYCLE_1)
	s_lshr_b32 s3, s3, 27
	s_add_i32 s3, s10, s3
	s_delay_alu instid0(SALU_CYCLE_1) | instskip(NEXT) | instid1(SALU_CYCLE_1)
	s_ashr_i32 s3, s3, 5
	v_cvt_f32_u32_e32 v1, s3
	s_sub_i32 s5, 0, s3
	s_delay_alu instid0(VALU_DEP_1) | instskip(SKIP_2) | instid1(VALU_DEP_1)
	v_rcp_iflag_f32_e32 v1, v1
	s_waitcnt_depctr 0xfff
	v_mul_f32_e32 v1, 0x4f7ffffe, v1
	v_cvt_u32_f32_e32 v1, v1
	s_delay_alu instid0(VALU_DEP_1) | instskip(NEXT) | instid1(VALU_DEP_1)
	v_readfirstlane_b32 s4, v1
	s_mul_i32 s5, s5, s4
	s_delay_alu instid0(SALU_CYCLE_1) | instskip(NEXT) | instid1(SALU_CYCLE_1)
	s_mul_hi_u32 s5, s4, s5
	s_add_i32 s4, s4, s5
	s_delay_alu instid0(SALU_CYCLE_1) | instskip(NEXT) | instid1(SALU_CYCLE_1)
	s_mul_hi_u32 s4, s14, s4
	s_mul_i32 s5, s4, s3
	s_add_i32 s6, s4, 1
	s_sub_i32 s5, s14, s5
	s_delay_alu instid0(SALU_CYCLE_1)
	s_sub_i32 s7, s5, s3
	s_cmp_ge_u32 s5, s3
	s_cselect_b32 s4, s6, s4
	s_cselect_b32 s5, s7, s5
	s_add_i32 s6, s4, 1
	s_cmp_ge_u32 s5, s3
	s_cselect_b32 s24, s6, s4
	s_delay_alu instid0(SALU_CYCLE_1) | instskip(NEXT) | instid1(SALU_CYCLE_1)
	s_mul_i32 s3, s24, s3
	s_sub_i32 s25, s14, s3
	s_mov_b32 s3, 0
	s_lshl_b32 s11, s25, 4
	s_delay_alu instid0(SALU_CYCLE_1)
	s_cmp_eq_u32 s10, s11
	s_cbranch_scc1 .LBB18_101
; %bb.1:
	s_mov_b32 s2, s15
	s_clause 0x1
	s_load_b128 s[4:7], s[0:1], 0x10
	s_load_b128 s[12:15], s[0:1], 0x30
	s_lshl_b64 s[2:3], s[2:3], 3
	s_load_b64 s[16:17], s[0:1], 0x40
	v_mov_b32_e32 v1, v0
	s_waitcnt lgkmcnt(0)
	s_add_u32 s4, s4, s2
	s_addc_u32 s5, s5, s3
	s_add_u32 s2, s14, s2
	s_addc_u32 s3, s15, s3
	s_load_b64 s[18:19], s[4:5], 0x0
	s_load_b64 s[14:15], s[2:3], 0x0
	s_sub_i32 s23, s10, s11
	s_delay_alu instid0(SALU_CYCLE_1) | instskip(NEXT) | instid1(SALU_CYCLE_1)
	s_min_u32 s22, s23, 16
	s_lshl_b32 s10, s22, 1
	v_cmp_gt_u32_e64 s4, s22, v0
	v_cmp_le_u32_e64 s2, s22, v0
	v_cmp_gt_u32_e64 s3, s10, v0
	v_cmp_le_u32_e32 vcc_lo, s10, v0
	s_delay_alu instid0(VALU_DEP_3)
	s_and_saveexec_b32 s5, s2
	s_cbranch_execz .LBB18_7
; %bb.2:
                                        ; implicit-def: $vgpr1
	s_and_saveexec_b32 s11, vcc_lo
	s_delay_alu instid0(SALU_CYCLE_1)
	s_xor_b32 s11, exec_lo, s11
; %bb.3:
	v_subrev_nc_u32_e32 v1, s10, v0
; %bb.4:
	s_and_not1_saveexec_b32 s10, s11
; %bb.5:
	v_subrev_nc_u32_e32 v1, s22, v0
; %bb.6:
	s_or_b32 exec_lo, exec_lo, s10
.LBB18_7:
	s_delay_alu instid0(SALU_CYCLE_1) | instskip(SKIP_4) | instid1(VALU_DEP_1)
	s_or_b32 exec_lo, exec_lo, s5
	s_load_b32 s10, s[0:1], 0x20
	v_cndmask_b32_e64 v2, 0, 0xc00, s3
	s_mul_i32 s5, s24, s13
	s_mul_hi_u32 s13, s24, s12
	v_cndmask_b32_e64 v7, v2, 0x800, s4
	s_waitcnt lgkmcnt(0)
	s_ashr_i32 s11, s10, 31
	s_delay_alu instid0(SALU_CYCLE_1) | instskip(NEXT) | instid1(SALU_CYCLE_1)
	s_lshl_b64 s[20:21], s[10:11], 5
	s_add_u32 s4, s20, 32
	s_addc_u32 s20, s21, 0
	s_add_i32 s5, s13, s5
	s_mul_hi_u32 s13, s4, s25
	s_mul_i32 s21, s20, s25
	s_mul_i32 s20, s4, s25
	s_add_i32 s21, s13, s21
	s_mul_i32 s4, s24, s12
	s_and_saveexec_b32 s12, vcc_lo
	s_delay_alu instid0(SALU_CYCLE_1)
	s_xor_b32 s26, exec_lo, s12
	s_cbranch_execz .LBB18_17
; %bb.8:
	s_mul_i32 s12, s22, 3
	s_mov_b32 s27, exec_lo
	v_cmpx_gt_u32_e64 s12, v0
	s_cbranch_execz .LBB18_16
; %bb.9:
	s_cmpk_eq_i32 s8, 0x7a
	s_mov_b32 s12, -1
	s_cbranch_scc1 .LBB18_13
; %bb.10:
	s_add_i32 s28, s22, -1
	s_lshl_b32 s36, s22, 2
	s_mul_i32 s13, s22, s28
	s_lshl_b64 s[30:31], s[4:5], 2
	s_lshl_b64 s[34:35], s[20:21], 2
	s_add_i32 s12, s22, 1
	s_lshl_b32 s33, s13, 2
	s_mov_b32 s29, 0
	s_sub_i32 s13, 0, s36
	v_lshlrev_b32_e32 v3, 2, v1
	s_add_u32 s30, s30, s34
	s_addc_u32 s31, s31, s35
	s_lshl_b64 s[28:29], s[28:29], 2
	v_ashrrev_i32_e32 v2, 31, v1
	s_add_u32 s28, s36, s28
	v_add3_u32 v4, s33, v3, v7
	s_mul_i32 s33, s28, s11
	s_mul_hi_u32 s34, s28, s10
	s_addc_u32 s29, 0, s29
	s_add_i32 s33, s34, s33
	s_mul_i32 s29, s29, s10
	s_mul_i32 s28, s28, s10
	s_add_i32 s33, s33, s29
	s_add_u32 s30, s30, s28
	s_addc_u32 s31, s31, s33
	s_lshl_b64 s[28:29], s[6:7], 2
	v_lshlrev_b64 v[2:3], 2, v[1:2]
	s_add_u32 s28, s30, s28
	s_addc_u32 s29, s31, s29
	s_add_u32 s28, s18, s28
	s_addc_u32 s29, s19, s29
	s_delay_alu instid0(VALU_DEP_1) | instskip(SKIP_2) | instid1(SALU_CYCLE_1)
	v_add_co_u32 v2, vcc_lo, s28, v2
	v_add_co_ci_u32_e32 v3, vcc_lo, s29, v3, vcc_lo
	s_lshl_b64 s[28:29], s[10:11], 2
	s_sub_u32 s28, 0, s28
	s_subb_u32 s29, 0, s29
.LBB18_11:                              ; =>This Inner Loop Header: Depth=1
	global_load_b32 v5, v[2:3], off
	v_add_co_u32 v2, vcc_lo, v2, s28
	v_add_co_ci_u32_e32 v3, vcc_lo, s29, v3, vcc_lo
	s_add_i32 s12, s12, -1
	s_delay_alu instid0(SALU_CYCLE_1)
	s_cmp_gt_u32 s12, 1
	s_waitcnt vmcnt(0)
	ds_store_b32 v4, v5
	v_add_nc_u32_e32 v4, s13, v4
	s_cbranch_scc1 .LBB18_11
; %bb.12:
	s_mov_b32 s12, 0
.LBB18_13:
	s_delay_alu instid0(SALU_CYCLE_1)
	s_and_b32 vcc_lo, exec_lo, s12
	s_cbranch_vccz .LBB18_16
; %bb.14:
	v_add_nc_u32_e32 v2, s22, v1
	s_lshl_b64 s[12:13], s[6:7], 2
	v_lshl_add_u32 v4, v1, 2, v7
	s_add_u32 s28, s18, s12
	s_addc_u32 s29, s19, s13
	v_ashrrev_i32_e32 v3, 31, v2
	s_lshl_b64 s[12:13], s[20:21], 2
	s_delay_alu instid0(SALU_CYCLE_1) | instskip(SKIP_1) | instid1(VALU_DEP_1)
	s_add_u32 s28, s28, s12
	s_addc_u32 s29, s29, s13
	v_lshlrev_b64 v[2:3], 2, v[2:3]
	s_lshl_b64 s[12:13], s[4:5], 2
	s_delay_alu instid0(SALU_CYCLE_1) | instskip(SKIP_2) | instid1(VALU_DEP_1)
	s_add_u32 s12, s28, s12
	s_addc_u32 s13, s29, s13
	s_lshl_b32 s28, s22, 2
	v_add_co_u32 v2, vcc_lo, s12, v2
	v_add_co_ci_u32_e32 v3, vcc_lo, s13, v3, vcc_lo
	s_lshl_b64 s[12:13], s[10:11], 2
	s_mov_b32 s29, s22
.LBB18_15:                              ; =>This Inner Loop Header: Depth=1
	global_load_b32 v5, v[2:3], off
	v_add_co_u32 v2, vcc_lo, v2, s12
	v_add_co_ci_u32_e32 v3, vcc_lo, s13, v3, vcc_lo
	s_add_i32 s29, s29, -1
	s_delay_alu instid0(SALU_CYCLE_1)
	s_cmp_eq_u32 s29, 0
	s_waitcnt vmcnt(0)
	ds_store_b32 v4, v5
	v_add_nc_u32_e32 v4, s28, v4
	s_cbranch_scc0 .LBB18_15
.LBB18_16:
	s_or_b32 exec_lo, exec_lo, s27
.LBB18_17:
	s_and_not1_saveexec_b32 s12, s26
	s_cbranch_execz .LBB18_31
; %bb.18:
	v_mov_b32_e32 v2, 0
	v_mov_b32_e32 v3, 0
	s_and_saveexec_b32 s13, s2
; %bb.19:
	s_add_u32 s26, s10, 1
	s_addc_u32 s27, s11, 0
	s_mul_hi_u32 s28, s26, s22
	s_mul_i32 s27, s27, s22
	s_mul_i32 s26, s26, s22
	s_add_i32 s27, s28, s27
	s_delay_alu instid0(SALU_CYCLE_1)
	v_dual_mov_b32 v2, s26 :: v_dual_mov_b32 v3, s27
; %bb.20:
	s_or_b32 exec_lo, exec_lo, s13
	s_delay_alu instid0(VALU_DEP_1)
	v_lshlrev_b64 v[3:4], 2, v[2:3]
	s_cmpk_lg_i32 s8, 0x7a
	s_mov_b32 s13, -1
	s_cbranch_scc0 .LBB18_26
; %bb.21:
	s_add_i32 s13, s22, -1
	s_lshl_b64 s[28:29], s[4:5], 2
	s_lshl_b64 s[30:31], s[20:21], 2
	s_lshl_b32 s26, s22, 2
	s_add_u32 s27, s28, s30
	s_mul_i32 s28, s11, s13
	s_mul_hi_u32 s30, s10, s13
	s_addc_u32 s31, s29, s31
	s_add_i32 s29, s30, s28
	s_mul_i32 s28, s10, s13
	v_ashrrev_i32_e32 v2, 31, v1
	s_lshl_b64 s[28:29], s[28:29], 2
	v_sub_nc_u32_e32 v9, s13, v1
	s_add_u32 s27, s27, s28
	s_addc_u32 s30, s31, s29
	s_lshl_b64 s[28:29], s[6:7], 2
	v_lshlrev_b64 v[5:6], 2, v[1:2]
	s_add_u32 s27, s28, s27
	s_addc_u32 s28, s29, s30
	v_add_co_u32 v2, vcc_lo, s27, v3
	v_add_co_ci_u32_e32 v8, vcc_lo, s28, v4, vcc_lo
	s_lshl_b64 s[28:29], s[10:11], 2
	s_delay_alu instid0(VALU_DEP_2) | instskip(NEXT) | instid1(VALU_DEP_2)
	v_add_co_u32 v5, vcc_lo, v2, v5
	v_add_co_ci_u32_e32 v6, vcc_lo, v8, v6, vcc_lo
	v_lshl_add_u32 v2, v9, 2, v7
	s_delay_alu instid0(VALU_DEP_3) | instskip(NEXT) | instid1(VALU_DEP_3)
	v_add_co_u32 v5, vcc_lo, s18, v5
	v_add_co_ci_u32_e32 v6, vcc_lo, s19, v6, vcc_lo
	s_sub_u32 s27, 0, s28
	s_subb_u32 s28, 0, s29
	s_branch .LBB18_23
	.p2align	6
.LBB18_22:                              ;   in Loop: Header=BB18_23 Depth=1
	s_or_b32 exec_lo, exec_lo, s29
	v_add_co_u32 v5, vcc_lo, v5, s27
	s_waitcnt vmcnt(0)
	ds_store_b32 v2, v8
	v_add_nc_u32_e32 v2, s26, v2
	v_add_co_ci_u32_e32 v6, vcc_lo, s28, v6, vcc_lo
	s_add_i32 s13, s13, -1
	s_delay_alu instid0(SALU_CYCLE_1)
	s_cmp_eq_u32 s13, -1
	s_cbranch_scc1 .LBB18_25
.LBB18_23:                              ; =>This Inner Loop Header: Depth=1
	v_mov_b32_e32 v8, 0
	s_mov_b32 s29, exec_lo
	v_cmpx_ge_i32_e64 s13, v1
	s_cbranch_execz .LBB18_22
; %bb.24:                               ;   in Loop: Header=BB18_23 Depth=1
	global_load_b32 v8, v[5:6], off
	s_branch .LBB18_22
.LBB18_25:
	s_mov_b32 s13, 0
.LBB18_26:
	s_delay_alu instid0(SALU_CYCLE_1)
	s_and_b32 vcc_lo, exec_lo, s13
	s_cbranch_vccz .LBB18_31
; %bb.27:
	s_lshl_b64 s[4:5], s[4:5], 2
	s_lshl_b64 s[20:21], s[20:21], 2
	v_ashrrev_i32_e32 v2, 31, v1
	s_lshl_b32 s13, s22, 2
	s_add_u32 s20, s4, s20
	s_addc_u32 s21, s5, s21
	s_lshl_b64 s[4:5], s[6:7], 2
	v_lshlrev_b64 v[5:6], 2, v[1:2]
	s_add_u32 s4, s4, s20
	s_addc_u32 s5, s5, s21
	v_add_co_u32 v2, vcc_lo, s4, v3
	v_add_co_ci_u32_e32 v3, vcc_lo, s5, v4, vcc_lo
	v_lshl_add_u32 v4, v1, 2, v7
	s_delay_alu instid0(VALU_DEP_3) | instskip(NEXT) | instid1(VALU_DEP_3)
	v_add_co_u32 v2, vcc_lo, v2, v5
	v_add_co_ci_u32_e32 v3, vcc_lo, v3, v6, vcc_lo
	s_lshl_b64 s[4:5], s[10:11], 2
	s_delay_alu instid0(VALU_DEP_2) | instskip(NEXT) | instid1(VALU_DEP_2)
	v_add_co_u32 v2, vcc_lo, s18, v2
	v_add_co_ci_u32_e32 v3, vcc_lo, s19, v3, vcc_lo
	s_mov_b32 s6, 0
	s_branch .LBB18_29
	.p2align	6
.LBB18_28:                              ;   in Loop: Header=BB18_29 Depth=1
	s_or_b32 exec_lo, exec_lo, s7
	v_add_co_u32 v2, vcc_lo, v2, s4
	s_waitcnt vmcnt(0)
	ds_store_b32 v4, v5
	v_add_nc_u32_e32 v4, s13, v4
	v_add_co_ci_u32_e32 v3, vcc_lo, s5, v3, vcc_lo
	s_add_i32 s6, s6, 1
	s_delay_alu instid0(SALU_CYCLE_1)
	s_cmp_eq_u32 s22, s6
	s_cbranch_scc1 .LBB18_31
.LBB18_29:                              ; =>This Inner Loop Header: Depth=1
	v_mov_b32_e32 v5, 0
	s_mov_b32 s7, exec_lo
	v_cmpx_le_i32_e64 s6, v1
	s_cbranch_execz .LBB18_28
; %bb.30:                               ;   in Loop: Header=BB18_29 Depth=1
	global_load_b32 v5, v[2:3], off
	s_branch .LBB18_28
.LBB18_31:
	s_or_b32 exec_lo, exec_lo, s12
	s_waitcnt lgkmcnt(0)
	s_barrier
	buffer_gl0_inv
	s_and_saveexec_b32 s4, s3
	s_cbranch_execz .LBB18_37
; %bb.32:
	s_add_i32 s5, s22, 1
	v_mov_b32_e32 v4, 1.0
	v_mul_i32_i24_e32 v2, s5, v1
	s_cmpk_eq_i32 s9, 0x84
	s_delay_alu instid0(VALU_DEP_1)
	v_lshl_add_u32 v2, v2, 2, v7
	s_cbranch_scc1 .LBB18_36
; %bb.33:
	ds_load_b32 v3, v2
	v_mov_b32_e32 v4, 1.0
	s_mov_b32 s5, exec_lo
	s_waitcnt lgkmcnt(0)
	v_cmpx_neq_f32_e32 0, v3
; %bb.34:
	v_div_scale_f32 v4, null, v3, v3, 1.0
	s_delay_alu instid0(VALU_DEP_1) | instskip(SKIP_2) | instid1(VALU_DEP_1)
	v_rcp_f32_e32 v5, v4
	s_waitcnt_depctr 0xfff
	v_fma_f32 v6, -v4, v5, 1.0
	v_fmac_f32_e32 v5, v6, v5
	v_div_scale_f32 v6, vcc_lo, 1.0, v3, 1.0
	s_delay_alu instid0(VALU_DEP_1) | instskip(NEXT) | instid1(VALU_DEP_1)
	v_mul_f32_e32 v8, v6, v5
	v_fma_f32 v9, -v4, v8, v6
	s_delay_alu instid0(VALU_DEP_1) | instskip(NEXT) | instid1(VALU_DEP_1)
	v_fmac_f32_e32 v8, v9, v5
	v_fma_f32 v4, -v4, v8, v6
	s_delay_alu instid0(VALU_DEP_1) | instskip(NEXT) | instid1(VALU_DEP_1)
	v_div_fmas_f32 v4, v4, v5, v8
	v_div_fixup_f32 v4, v4, v3, 1.0
; %bb.35:
	s_or_b32 exec_lo, exec_lo, s5
.LBB18_36:
	ds_store_b32 v2, v4
.LBB18_37:
	s_or_b32 exec_lo, exec_lo, s4
	s_waitcnt lgkmcnt(0)
	s_barrier
	buffer_gl0_inv
	s_and_saveexec_b32 s4, s3
	s_cbranch_execz .LBB18_49
; %bb.38:
	s_add_i32 s5, s22, 1
	v_lshlrev_b32_e32 v5, 2, v1
	v_mul_i32_i24_e32 v4, s5, v1
	s_lshl_b32 s5, s22, 2
	v_add_nc_u32_e32 v2, 4, v7
	s_add_i32 s6, s5, 4
	v_add_nc_u32_e32 v3, v7, v5
	v_lshl_add_u32 v4, v4, 2, v7
	v_add3_u32 v5, v5, s5, v7
	s_mov_b32 s7, 0
	s_branch .LBB18_40
.LBB18_39:                              ;   in Loop: Header=BB18_40 Depth=1
	s_set_inst_prefetch_distance 0x2
	v_add_nc_u32_e32 v2, s6, v2
	v_add_nc_u32_e32 v5, s5, v5
	s_cmp_eq_u32 s7, s22
	s_cbranch_scc1 .LBB18_49
.LBB18_40:                              ; =>This Loop Header: Depth=1
                                        ;     Child Loop BB18_45 Depth 2
	v_mov_b32_e32 v6, 0
	s_mul_i32 s9, s7, s22
	s_mov_b32 s10, exec_lo
	v_cmpx_lt_i32_e64 s7, v1
	s_cbranch_execz .LBB18_42
; %bb.41:                               ;   in Loop: Header=BB18_40 Depth=1
	s_lshl_b32 s11, s9, 2
	s_lshl_b32 s12, s7, 2
	v_add_nc_u32_e32 v6, s11, v3
	v_add3_u32 v8, s11, s12, v7
	ds_load_b32 v6, v6
	ds_load_b32 v8, v8
	s_waitcnt lgkmcnt(0)
	v_fma_f32 v6, v6, v8, 0
.LBB18_42:                              ;   in Loop: Header=BB18_40 Depth=1
	s_or_b32 exec_lo, exec_lo, s10
	s_add_i32 s7, s7, 1
	s_delay_alu instid0(SALU_CYCLE_1)
	s_cmp_ge_u32 s7, s22
	s_cbranch_scc1 .LBB18_39
; %bb.43:                               ;   in Loop: Header=BB18_40 Depth=1
	v_lshl_add_u32 v8, s9, 2, v3
	v_dual_mov_b32 v9, v5 :: v_dual_mov_b32 v10, v2
	s_mov_b32 s9, s7
	s_set_inst_prefetch_distance 0x1
	s_branch .LBB18_45
	.p2align	6
.LBB18_44:                              ;   in Loop: Header=BB18_45 Depth=2
	s_or_b32 exec_lo, exec_lo, s10
	v_add_nc_u32_e32 v10, 4, v10
	v_add_nc_u32_e32 v9, s5, v9
	s_add_i32 s9, s9, 1
	s_delay_alu instid0(SALU_CYCLE_1)
	s_cmp_ge_u32 s9, s22
	s_cbranch_scc1 .LBB18_39
.LBB18_45:                              ;   Parent Loop BB18_40 Depth=1
                                        ; =>  This Inner Loop Header: Depth=2
	s_mov_b32 s10, exec_lo
	v_cmpx_eq_u32_e64 s9, v1
	s_cbranch_execz .LBB18_47
; %bb.46:                               ;   in Loop: Header=BB18_45 Depth=2
	ds_load_b32 v11, v4
	s_waitcnt lgkmcnt(0)
	v_mul_f32_e64 v11, -v6, v11
	ds_store_b32 v8, v11
.LBB18_47:                              ;   in Loop: Header=BB18_45 Depth=2
	s_or_b32 exec_lo, exec_lo, s10
	s_delay_alu instid0(SALU_CYCLE_1)
	s_mov_b32 s10, exec_lo
	v_cmpx_lt_i32_e64 s9, v1
	s_cbranch_execz .LBB18_44
; %bb.48:                               ;   in Loop: Header=BB18_45 Depth=2
	ds_load_b32 v11, v9
	ds_load_b32 v12, v10
	s_waitcnt lgkmcnt(0)
	v_fmac_f32_e32 v6, v11, v12
	s_branch .LBB18_44
.LBB18_49:
	s_or_b32 exec_lo, exec_lo, s4
	s_and_b32 s4, s22, 0xffff
	v_cvt_f32_ubyte0_e32 v4, v0
	v_cvt_f32_u32_e32 v2, s4
	s_mul_i32 s4, s22, s22
	s_cmpk_lg_i32 s8, 0x7a
	v_cmp_gt_u32_e64 s4, s4, v0
	s_cselect_b32 s5, -1, 0
	v_rcp_iflag_f32_e32 v3, v2
	s_mov_b32 s9, 0
	s_waitcnt lgkmcnt(0)
	s_barrier
	buffer_gl0_inv
	v_mul_f32_e32 v3, v4, v3
	s_delay_alu instid0(VALU_DEP_1) | instskip(NEXT) | instid1(VALU_DEP_1)
	v_trunc_f32_e32 v3, v3
	v_fma_f32 v4, -v3, v2, v4
	v_cvt_u32_f32_e32 v3, v3
	s_delay_alu instid0(VALU_DEP_2) | instskip(NEXT) | instid1(VALU_DEP_2)
	v_cmp_ge_f32_e64 vcc_lo, |v4|, v2
	v_add_co_ci_u32_e32 v2, vcc_lo, 0, v3, vcc_lo
	s_and_b32 vcc_lo, exec_lo, s5
	s_delay_alu instid0(VALU_DEP_1) | instskip(SKIP_1) | instid1(VALU_DEP_2)
	v_mul_lo_u16 v3, v2, s22
	v_and_b32_e32 v9, 0xffff, v2
	v_sub_nc_u16 v3, v0, v3
	s_delay_alu instid0(VALU_DEP_1)
	v_and_b32_e32 v8, 0xffff, v3
	s_cbranch_vccz .LBB18_61
; %bb.50:
	s_mov_b32 s6, 0
                                        ; implicit-def: $vgpr0
                                        ; implicit-def: $vgpr2
	s_and_saveexec_b32 s7, s4
	s_cbranch_execz .LBB18_60
; %bb.51:
	v_add_nc_u32_e32 v4, 1, v9
	v_dual_mov_b32 v0, 0 :: v_dual_lshlrev_b32 v3, 6, v9
	v_mov_b32_e32 v2, 0
	s_mov_b32 s8, exec_lo
	v_cmpx_lt_u16_e32 6, v9
	s_cbranch_execz .LBB18_55
; %bb.52:
	v_and_b32_e32 v2, 0x7f8, v4
	v_dual_mov_b32 v0, 0 :: v_dual_lshlrev_b32 v5, 2, v8
	v_sub_nc_u32_e32 v6, 0xfe0, v3
	s_mov_b32 s10, 0
	.p2align	6
.LBB18_53:                              ; =>This Inner Loop Header: Depth=1
	ds_load_2addr_b32 v[18:19], v5 offset1:16
	ds_load_b128 v[10:13], v6 offset:16
	ds_load_b128 v[14:17], v6
	ds_load_2addr_b32 v[20:21], v5 offset0:32 offset1:48
	ds_load_2addr_b32 v[22:23], v5 offset0:64 offset1:80
	s_add_i32 s10, s10, 8
	v_subrev_nc_u32_e32 v6, 32, v6
	v_cmp_eq_u32_e32 vcc_lo, s10, v2
	s_or_b32 s9, vcc_lo, s9
	s_waitcnt lgkmcnt(3)
	v_fmac_f32_e32 v0, v18, v13
	s_delay_alu instid0(VALU_DEP_1) | instskip(SKIP_3) | instid1(VALU_DEP_1)
	v_fmac_f32_e32 v0, v19, v12
	ds_load_2addr_b32 v[12:13], v5 offset0:96 offset1:112
	s_waitcnt lgkmcnt(2)
	v_dual_fmac_f32 v0, v20, v11 :: v_dual_add_nc_u32 v5, 0x200, v5
	v_fmac_f32_e32 v0, v21, v10
	s_waitcnt lgkmcnt(1)
	s_delay_alu instid0(VALU_DEP_1) | instskip(NEXT) | instid1(VALU_DEP_1)
	v_fmac_f32_e32 v0, v22, v17
	v_fmac_f32_e32 v0, v23, v16
	s_waitcnt lgkmcnt(0)
	s_delay_alu instid0(VALU_DEP_1) | instskip(NEXT) | instid1(VALU_DEP_1)
	v_fmac_f32_e32 v0, v12, v15
	v_fmac_f32_e32 v0, v13, v14
	s_and_not1_b32 exec_lo, exec_lo, s9
	s_cbranch_execnz .LBB18_53
; %bb.54:
	s_or_b32 exec_lo, exec_lo, s9
.LBB18_55:
	s_delay_alu instid0(SALU_CYCLE_1) | instskip(SKIP_3) | instid1(VALU_DEP_1)
	s_or_b32 exec_lo, exec_lo, s8
	v_and_b32_e32 v4, 7, v4
	s_mov_b32 s9, 0
	s_mov_b32 s8, exec_lo
	v_cmpx_ne_u32_e32 0, v4
	s_cbranch_execz .LBB18_59
; %bb.56:
	v_lshl_add_u32 v3, v2, 2, v3
	v_lshlrev_b32_e32 v5, 2, v8
	s_delay_alu instid0(VALU_DEP_2) | instskip(NEXT) | instid1(VALU_DEP_2)
	v_sub_nc_u32_e32 v3, 0xffc, v3
	v_lshl_add_u32 v2, v2, 6, v5
.LBB18_57:                              ; =>This Inner Loop Header: Depth=1
	ds_load_b32 v5, v2
	ds_load_b32 v6, v3
	v_add_nc_u32_e32 v4, -1, v4
	v_add_nc_u32_e32 v3, -4, v3
	v_add_nc_u32_e32 v2, 64, v2
	s_delay_alu instid0(VALU_DEP_3)
	v_cmp_eq_u32_e32 vcc_lo, 0, v4
	s_or_b32 s9, vcc_lo, s9
	s_waitcnt lgkmcnt(0)
	v_fmac_f32_e32 v0, v5, v6
	s_and_not1_b32 exec_lo, exec_lo, s9
	s_cbranch_execnz .LBB18_57
; %bb.58:
	s_or_b32 exec_lo, exec_lo, s9
.LBB18_59:
	s_delay_alu instid0(SALU_CYCLE_1) | instskip(NEXT) | instid1(SALU_CYCLE_1)
	s_or_b32 exec_lo, exec_lo, s8
	s_mov_b32 s9, exec_lo
	v_lshlrev_b32_e32 v2, 4, v9
.LBB18_60:
	s_or_b32 exec_lo, exec_lo, s7
	s_delay_alu instid0(SALU_CYCLE_1)
	s_and_b32 vcc_lo, exec_lo, s6
	s_cbranch_vccnz .LBB18_62
	s_branch .LBB18_69
.LBB18_61:
                                        ; implicit-def: $vgpr0
                                        ; implicit-def: $vgpr2
	s_cbranch_execz .LBB18_69
.LBB18_62:
                                        ; implicit-def: $vgpr0
                                        ; implicit-def: $vgpr2
	s_and_saveexec_b32 s6, s4
	s_cbranch_execz .LBB18_68
; %bb.63:
	v_mov_b32_e32 v0, 0
	s_mov_b32 s7, exec_lo
	v_cmpx_gt_u16_e32 16, v9
	s_cbranch_execz .LBB18_67
; %bb.64:
	v_lshlrev_b32_e32 v0, 2, v8
	s_movk_i32 s8, 0x44
	v_add_nc_u32_e32 v2, -1, v9
	v_mad_u32_u24 v3, v9, s8, 0x800
	s_mov_b32 s8, 0
	v_lshl_add_u32 v4, v9, 6, v0
	v_mov_b32_e32 v0, 0
.LBB18_65:                              ; =>This Inner Loop Header: Depth=1
	ds_load_b32 v5, v4
	ds_load_b32 v6, v3
	v_add_nc_u32_e32 v2, 1, v2
	v_add_nc_u32_e32 v4, 64, v4
	;; [unrolled: 1-line block ×3, first 2 shown]
	s_delay_alu instid0(VALU_DEP_3)
	v_cmp_lt_u32_e32 vcc_lo, 14, v2
	s_or_b32 s8, vcc_lo, s8
	s_waitcnt lgkmcnt(0)
	v_fmac_f32_e32 v0, v5, v6
	s_and_not1_b32 exec_lo, exec_lo, s8
	s_cbranch_execnz .LBB18_65
; %bb.66:
	s_or_b32 exec_lo, exec_lo, s8
.LBB18_67:
	s_delay_alu instid0(SALU_CYCLE_1)
	s_or_b32 exec_lo, exec_lo, s7
	v_lshlrev_b32_e32 v2, 4, v9
	s_or_b32 s9, s9, exec_lo
.LBB18_68:
	s_or_b32 exec_lo, exec_lo, s6
.LBB18_69:
	s_and_saveexec_b32 s6, s9
	s_cbranch_execz .LBB18_71
; %bb.70:
	v_add_lshl_u32 v2, v2, v8, 2
	ds_store_b32 v2, v0 offset:1024
.LBB18_71:
	s_or_b32 exec_lo, exec_lo, s6
	s_clause 0x1
	s_load_b32 s6, s[0:1], 0x48
	s_load_b64 s[10:11], s[0:1], 0x58
	s_lshl_b64 s[0:1], s[16:17], 2
	s_waitcnt lgkmcnt(0)
	s_barrier
	buffer_gl0_inv
	s_ashr_i32 s7, s6, 31
	s_add_u32 s12, s14, s0
	s_addc_u32 s13, s15, s1
	s_lshl_b64 s[8:9], s[6:7], 5
	s_mul_i32 s11, s24, s11
	s_add_u32 s8, s8, 32
	s_addc_u32 s9, s9, 0
	s_mul_hi_u32 s16, s8, s25
	s_mul_i32 s9, s9, s25
	s_mul_i32 s8, s8, s25
	s_add_i32 s9, s16, s9
	s_mul_hi_u32 s16, s24, s10
	s_lshl_b64 s[8:9], s[8:9], 2
	s_mul_i32 s10, s24, s10
	s_add_u32 s12, s12, s8
	s_addc_u32 s13, s13, s9
	s_add_i32 s11, s16, s11
	s_mov_b32 s16, -1
	s_lshl_b64 s[10:11], s[10:11], 2
	s_delay_alu instid0(SALU_CYCLE_1)
	s_add_u32 s12, s12, s10
	s_addc_u32 s13, s13, s11
	s_and_b32 vcc_lo, exec_lo, s5
	s_cbranch_vccnz .LBB18_74
; %bb.72:
	s_and_not1_b32 vcc_lo, exec_lo, s16
	s_cbranch_vccz .LBB18_79
.LBB18_73:
	s_and_saveexec_b32 s4, s3
	s_cbranch_execnz .LBB18_90
	s_branch .LBB18_101
.LBB18_74:
	s_and_saveexec_b32 s16, s4
	s_cbranch_execz .LBB18_78
; %bb.75:
	v_sub_nc_u32_e32 v0, s22, v8
	v_mad_u32_u24 v4, s22, v9, v8
	v_add_nc_u32_e32 v3, -1, v8
	s_lshl_b32 s18, s22, 2
	s_mov_b32 s17, 0
	v_mul_i32_i24_e32 v2, s22, v0
	v_lshlrev_b32_e32 v0, 2, v8
	v_lshl_add_u32 v4, v4, 2, 0x400
	s_sub_i32 s18, 0, s18
	s_delay_alu instid0(VALU_DEP_3) | instskip(NEXT) | instid1(VALU_DEP_1)
	v_lshlrev_b32_e32 v2, 2, v2
	v_sub_nc_u32_e32 v2, v2, v0
	s_delay_alu instid0(VALU_DEP_1)
	v_dual_mov_b32 v2, 0 :: v_dual_add_nc_u32 v5, 0x7fc, v2
.LBB18_76:                              ; =>This Inner Loop Header: Depth=1
	ds_load_b32 v6, v5
	ds_load_b32 v10, v4
	v_add_nc_u32_e32 v3, 1, v3
	v_add_nc_u32_e32 v4, 4, v4
	;; [unrolled: 1-line block ×3, first 2 shown]
	s_delay_alu instid0(VALU_DEP_3)
	v_cmp_lt_u32_e32 vcc_lo, 14, v3
	s_or_b32 s17, vcc_lo, s17
	s_waitcnt lgkmcnt(0)
	v_fma_f32 v2, -v6, v10, v2
	s_and_not1_b32 exec_lo, exec_lo, s17
	s_cbranch_execnz .LBB18_76
; %bb.77:
	s_or_b32 exec_lo, exec_lo, s17
	v_mad_i64_i32 v[3:4], null, v9, s6, 0
	s_mul_hi_i32 s19, s22, s6
	s_mul_i32 s18, s22, s6
	s_delay_alu instid0(SALU_CYCLE_1) | instskip(NEXT) | instid1(SALU_CYCLE_1)
	s_lshl_b64 s[18:19], s[18:19], 2
	s_add_u32 s17, s12, s18
	s_delay_alu instid0(VALU_DEP_1) | instskip(SKIP_2) | instid1(VALU_DEP_1)
	v_lshlrev_b64 v[3:4], 2, v[3:4]
	s_addc_u32 s18, s13, s19
	v_add_co_u32 v0, s17, s17, v0
	v_add_co_ci_u32_e64 v5, null, s18, 0, s17
	s_delay_alu instid0(VALU_DEP_2) | instskip(NEXT) | instid1(VALU_DEP_2)
	v_add_co_u32 v3, vcc_lo, v0, v3
	v_add_co_ci_u32_e32 v4, vcc_lo, v5, v4, vcc_lo
	global_store_b32 v[3:4], v2, off
.LBB18_78:
	s_or_b32 exec_lo, exec_lo, s16
	s_cbranch_execnz .LBB18_73
.LBB18_79:
	s_and_saveexec_b32 s16, s4
	s_cbranch_execz .LBB18_89
; %bb.80:
	v_mul_u32_u24_e32 v10, s22, v9
	v_dual_mov_b32 v11, 0 :: v_dual_add_nc_u32 v12, 1, v8
	v_mov_b32_e32 v6, 0
	s_mov_b32 s4, exec_lo
	v_cmpx_lt_u16_e32 6, v8
	s_cbranch_execz .LBB18_84
; %bb.81:
	v_lshl_add_u32 v0, v8, 2, 0xc00
	v_and_b32_e32 v11, 56, v12
	v_lshl_add_u32 v13, v10, 2, 0x400
	s_lshl_b32 s18, s22, 5
	s_mov_b32 s17, 0
	v_mad_u64_u32 v[2:3], null, s22, 12, v[0:1]
	v_mad_u64_u32 v[3:4], null, s22, 20, v[0:1]
	;; [unrolled: 1-line block ×4, first 2 shown]
	v_mov_b32_e32 v6, 0
	v_lshl_add_u32 v14, s22, 2, v0
	v_lshl_add_u32 v15, s22, 3, v0
	;; [unrolled: 1-line block ×3, first 2 shown]
	s_mov_b32 s19, 0
.LBB18_82:                              ; =>This Inner Loop Header: Depth=1
	ds_load_b32 v25, v0
	ds_load_2addr_b32 v[17:18], v13 offset1:1
	ds_load_b32 v26, v14
	ds_load_2addr_b32 v[19:20], v13 offset0:2 offset1:3
	ds_load_b32 v27, v15
	ds_load_b32 v28, v16
	;; [unrolled: 1-line block ×5, first 2 shown]
	ds_load_2addr_b32 v[21:22], v13 offset0:4 offset1:5
	ds_load_2addr_b32 v[23:24], v13 offset0:6 offset1:7
	ds_load_b32 v32, v5
	s_add_i32 s19, s19, 8
	v_add_nc_u32_e32 v13, 32, v13
	v_cmp_eq_u32_e32 vcc_lo, s19, v11
	v_add_nc_u32_e32 v14, s18, v14
	v_add_nc_u32_e32 v15, s18, v15
	;; [unrolled: 1-line block ×6, first 2 shown]
	s_waitcnt lgkmcnt(10)
	v_fma_f32 v6, -v25, v17, v6
	v_add_nc_u32_e32 v5, s18, v5
	v_add_nc_u32_e32 v0, s18, v0
	s_or_b32 s17, vcc_lo, s17
	s_waitcnt lgkmcnt(9)
	v_fma_f32 v6, -v26, v18, v6
	s_waitcnt lgkmcnt(7)
	s_delay_alu instid0(VALU_DEP_1) | instskip(SKIP_1) | instid1(VALU_DEP_1)
	v_fma_f32 v6, -v27, v19, v6
	s_waitcnt lgkmcnt(5)
	v_fma_f32 v6, -v29, v20, v6
	s_waitcnt lgkmcnt(2)
	s_delay_alu instid0(VALU_DEP_1) | instskip(NEXT) | instid1(VALU_DEP_1)
	v_fma_f32 v6, -v28, v21, v6
	v_fma_f32 v6, -v30, v22, v6
	s_waitcnt lgkmcnt(1)
	s_delay_alu instid0(VALU_DEP_1) | instskip(SKIP_1) | instid1(VALU_DEP_1)
	v_fma_f32 v6, -v31, v23, v6
	s_waitcnt lgkmcnt(0)
	v_fma_f32 v6, -v32, v24, v6
	s_and_not1_b32 exec_lo, exec_lo, s17
	s_cbranch_execnz .LBB18_82
; %bb.83:
	s_or_b32 exec_lo, exec_lo, s17
.LBB18_84:
	s_delay_alu instid0(SALU_CYCLE_1) | instskip(SKIP_3) | instid1(VALU_DEP_1)
	s_or_b32 exec_lo, exec_lo, s4
	v_and_b32_e32 v0, 7, v12
	s_mov_b32 s17, 0
	s_mov_b32 s4, exec_lo
	v_cmpx_ne_u32_e32 0, v0
	s_cbranch_execz .LBB18_88
; %bb.85:
	v_add_nc_u32_e32 v2, v10, v11
	v_mad_u32_u24 v3, v11, s22, v8
	s_lshl_b32 s18, s22, 2
	s_delay_alu instid0(VALU_DEP_2) | instskip(NEXT) | instid1(VALU_DEP_2)
	v_lshl_add_u32 v2, v2, 2, 0x400
	v_lshl_add_u32 v3, v3, 2, 0xc00
.LBB18_86:                              ; =>This Inner Loop Header: Depth=1
	ds_load_b32 v4, v3
	ds_load_b32 v5, v2
	v_add_nc_u32_e32 v0, -1, v0
	v_add_nc_u32_e32 v2, 4, v2
	v_add_nc_u32_e32 v3, s18, v3
	s_delay_alu instid0(VALU_DEP_3)
	v_cmp_eq_u32_e32 vcc_lo, 0, v0
	s_or_b32 s17, vcc_lo, s17
	s_waitcnt lgkmcnt(0)
	v_fma_f32 v6, -v4, v5, v6
	s_and_not1_b32 exec_lo, exec_lo, s17
	s_cbranch_execnz .LBB18_86
; %bb.87:
	s_or_b32 exec_lo, exec_lo, s17
.LBB18_88:
	s_delay_alu instid0(SALU_CYCLE_1) | instskip(SKIP_2) | instid1(VALU_DEP_2)
	s_or_b32 exec_lo, exec_lo, s4
	v_mad_i64_i32 v[2:3], null, v9, s6, 0
	v_add_lshl_u32 v0, s22, v8, 2
	v_lshlrev_b64 v[2:3], 2, v[2:3]
	s_delay_alu instid0(VALU_DEP_1) | instskip(NEXT) | instid1(VALU_DEP_2)
	v_add_co_u32 v2, vcc_lo, s12, v2
	v_add_co_ci_u32_e32 v3, vcc_lo, s13, v3, vcc_lo
	s_delay_alu instid0(VALU_DEP_2) | instskip(NEXT) | instid1(VALU_DEP_2)
	v_add_co_u32 v2, vcc_lo, v2, v0
	v_add_co_ci_u32_e32 v3, vcc_lo, 0, v3, vcc_lo
	global_store_b32 v[2:3], v6, off
.LBB18_89:
	s_or_b32 exec_lo, exec_lo, s16
	s_and_saveexec_b32 s4, s3
	s_cbranch_execz .LBB18_101
.LBB18_90:
	v_mov_b32_e32 v3, 0
	v_mov_b32_e32 v4, 0
	s_and_saveexec_b32 s3, s2
	s_cbranch_execnz .LBB18_93
; %bb.91:
	s_or_b32 exec_lo, exec_lo, s3
	s_delay_alu instid0(SALU_CYCLE_1)
	s_and_b32 vcc_lo, exec_lo, s5
	s_mov_b32 s2, -1
	s_cbranch_vccnz .LBB18_94
.LBB18_92:
	s_and_not1_b32 vcc_lo, exec_lo, s2
	s_cbranch_vccz .LBB18_98
	s_branch .LBB18_101
.LBB18_93:
	s_add_u32 s2, s6, 1
	s_addc_u32 s4, s7, 0
	s_mul_hi_u32 s16, s2, s22
	s_mul_i32 s4, s4, s22
	s_delay_alu instid0(SALU_CYCLE_1) | instskip(SKIP_1) | instid1(SALU_CYCLE_1)
	s_add_i32 s17, s16, s4
	s_mul_i32 s16, s2, s22
	v_dual_mov_b32 v3, s16 :: v_dual_mov_b32 v4, s17
	s_or_b32 exec_lo, exec_lo, s3
	s_delay_alu instid0(SALU_CYCLE_1)
	s_and_b32 vcc_lo, exec_lo, s5
	s_mov_b32 s2, -1
	s_cbranch_vccz .LBB18_92
.LBB18_94:
	s_mov_b32 s2, exec_lo
	v_cmpx_gt_i32_e64 s22, v1
	s_cbranch_execz .LBB18_97
; %bb.95:
	s_cmp_lt_u32 s23, 16
	v_ashrrev_i32_e32 v2, 31, v1
	s_cselect_b32 s3, s23, 16
	s_cselect_b32 s4, 0, 0
	s_add_u32 s3, s3, -1
	s_addc_u32 s4, s4, -1
	s_mul_i32 s5, s3, s7
	s_mul_hi_u32 s16, s3, s6
	s_mul_i32 s4, s4, s6
	s_add_i32 s5, s16, s5
	v_lshlrev_b64 v[5:6], 2, v[3:4]
	s_add_i32 s5, s5, s4
	s_mul_i32 s4, s3, s6
	v_lshlrev_b64 v[8:9], 2, v[1:2]
	s_lshl_b64 s[4:5], s[4:5], 2
	v_xad_u32 v0, v1, -1, s22
	s_add_u32 s3, s4, s10
	s_addc_u32 s4, s5, s11
	s_add_u32 s3, s3, s8
	s_addc_u32 s4, s4, s9
	;; [unrolled: 2-line block ×3, first 2 shown]
	v_add_co_u32 v2, vcc_lo, s0, v5
	v_add_co_ci_u32_e32 v5, vcc_lo, s1, v6, vcc_lo
	v_lshl_add_u32 v0, v0, 2, v7
	s_delay_alu instid0(VALU_DEP_3) | instskip(NEXT) | instid1(VALU_DEP_3)
	v_add_co_u32 v2, vcc_lo, v2, v8
	v_add_co_ci_u32_e32 v6, vcc_lo, v5, v9, vcc_lo
	s_lshl_b64 s[4:5], s[6:7], 2
	s_delay_alu instid0(VALU_DEP_2) | instskip(NEXT) | instid1(VALU_DEP_2)
	v_add_co_u32 v5, vcc_lo, s14, v2
	v_add_co_ci_u32_e32 v6, vcc_lo, s15, v6, vcc_lo
	s_sub_u32 s3, 0, s4
	s_mov_b32 s1, 0
	s_subb_u32 s4, 0, s5
	s_lshl_b32 s5, s22, 2
	s_mov_b32 s8, s22
.LBB18_96:                              ; =>This Inner Loop Header: Depth=1
	ds_load_b32 v2, v0
	s_add_i32 s8, s8, -1
	v_add_nc_u32_e32 v0, s5, v0
	v_cmp_le_i32_e32 vcc_lo, s8, v1
	s_or_b32 s1, vcc_lo, s1
	s_waitcnt lgkmcnt(0)
	global_store_b32 v[5:6], v2, off
	v_add_co_u32 v5, s0, v5, s3
	s_delay_alu instid0(VALU_DEP_1)
	v_add_co_ci_u32_e64 v6, s0, s4, v6, s0
	s_and_not1_b32 exec_lo, exec_lo, s1
	s_cbranch_execnz .LBB18_96
.LBB18_97:
	s_or_b32 exec_lo, exec_lo, s2
	s_cbranch_execnz .LBB18_101
.LBB18_98:
	v_cmp_lt_i32_e32 vcc_lo, -1, v1
	s_and_b32 exec_lo, exec_lo, vcc_lo
	s_cbranch_execz .LBB18_101
; %bb.99:
	v_mov_b32_e32 v2, 0
	v_lshlrev_b64 v[3:4], 2, v[3:4]
	v_lshl_add_u32 v0, v1, 2, v7
	s_lshl_b64 s[2:3], s[6:7], 2
	s_lshl_b32 s1, s22, 2
	v_lshlrev_b64 v[5:6], 2, v[1:2]
	v_add_nc_u32_e32 v1, 1, v1
	v_add_co_u32 v2, vcc_lo, s12, v3
	v_add_co_ci_u32_e32 v3, vcc_lo, s13, v4, vcc_lo
	s_mov_b32 s4, 0
	s_delay_alu instid0(VALU_DEP_2) | instskip(NEXT) | instid1(VALU_DEP_2)
	v_add_co_u32 v2, vcc_lo, v2, v5
	v_add_co_ci_u32_e32 v3, vcc_lo, v3, v6, vcc_lo
.LBB18_100:                             ; =>This Inner Loop Header: Depth=1
	ds_load_b32 v4, v0
	v_add_nc_u32_e32 v1, -1, v1
	v_add_nc_u32_e32 v0, s1, v0
	s_delay_alu instid0(VALU_DEP_2) | instskip(SKIP_4) | instid1(VALU_DEP_1)
	v_cmp_eq_u32_e32 vcc_lo, 0, v1
	s_or_b32 s4, vcc_lo, s4
	s_waitcnt lgkmcnt(0)
	global_store_b32 v[2:3], v4, off
	v_add_co_u32 v2, s0, v2, s2
	v_add_co_ci_u32_e64 v3, s0, s3, v3, s0
	s_and_not1_b32 exec_lo, exec_lo, s4
	s_cbranch_execnz .LBB18_100
.LBB18_101:
	s_nop 0
	s_sendmsg sendmsg(MSG_DEALLOC_VGPRS)
	s_endpgm
	.section	.rodata,"a",@progbits
	.p2align	6, 0x0
	.amdhsa_kernel _ZL29rocblas_trtri_diagonal_kernelILi16EfPKPKfPKPfEv13rocblas_fill_17rocblas_diagonal_iT1_lillT2_lilli
		.amdhsa_group_segment_fixed_size 4096
		.amdhsa_private_segment_fixed_size 0
		.amdhsa_kernarg_size 100
		.amdhsa_user_sgpr_count 14
		.amdhsa_user_sgpr_dispatch_ptr 0
		.amdhsa_user_sgpr_queue_ptr 0
		.amdhsa_user_sgpr_kernarg_segment_ptr 1
		.amdhsa_user_sgpr_dispatch_id 0
		.amdhsa_user_sgpr_private_segment_size 0
		.amdhsa_wavefront_size32 1
		.amdhsa_uses_dynamic_stack 0
		.amdhsa_enable_private_segment 0
		.amdhsa_system_sgpr_workgroup_id_x 1
		.amdhsa_system_sgpr_workgroup_id_y 0
		.amdhsa_system_sgpr_workgroup_id_z 1
		.amdhsa_system_sgpr_workgroup_info 0
		.amdhsa_system_vgpr_workitem_id 0
		.amdhsa_next_free_vgpr 33
		.amdhsa_next_free_sgpr 37
		.amdhsa_reserve_vcc 1
		.amdhsa_float_round_mode_32 0
		.amdhsa_float_round_mode_16_64 0
		.amdhsa_float_denorm_mode_32 3
		.amdhsa_float_denorm_mode_16_64 3
		.amdhsa_dx10_clamp 1
		.amdhsa_ieee_mode 1
		.amdhsa_fp16_overflow 0
		.amdhsa_workgroup_processor_mode 1
		.amdhsa_memory_ordered 1
		.amdhsa_forward_progress 0
		.amdhsa_shared_vgpr_count 0
		.amdhsa_exception_fp_ieee_invalid_op 0
		.amdhsa_exception_fp_denorm_src 0
		.amdhsa_exception_fp_ieee_div_zero 0
		.amdhsa_exception_fp_ieee_overflow 0
		.amdhsa_exception_fp_ieee_underflow 0
		.amdhsa_exception_fp_ieee_inexact 0
		.amdhsa_exception_int_div_zero 0
	.end_amdhsa_kernel
	.section	.text._ZL29rocblas_trtri_diagonal_kernelILi16EfPKPKfPKPfEv13rocblas_fill_17rocblas_diagonal_iT1_lillT2_lilli,"axG",@progbits,_ZL29rocblas_trtri_diagonal_kernelILi16EfPKPKfPKPfEv13rocblas_fill_17rocblas_diagonal_iT1_lillT2_lilli,comdat
.Lfunc_end18:
	.size	_ZL29rocblas_trtri_diagonal_kernelILi16EfPKPKfPKPfEv13rocblas_fill_17rocblas_diagonal_iT1_lillT2_lilli, .Lfunc_end18-_ZL29rocblas_trtri_diagonal_kernelILi16EfPKPKfPKPfEv13rocblas_fill_17rocblas_diagonal_iT1_lillT2_lilli
                                        ; -- End function
	.section	.AMDGPU.csdata,"",@progbits
; Kernel info:
; codeLenInByte = 4140
; NumSgprs: 39
; NumVgprs: 33
; ScratchSize: 0
; MemoryBound: 0
; FloatMode: 240
; IeeeMode: 1
; LDSByteSize: 4096 bytes/workgroup (compile time only)
; SGPRBlocks: 4
; VGPRBlocks: 4
; NumSGPRsForWavesPerEU: 39
; NumVGPRsForWavesPerEU: 33
; Occupancy: 16
; WaveLimiterHint : 1
; COMPUTE_PGM_RSRC2:SCRATCH_EN: 0
; COMPUTE_PGM_RSRC2:USER_SGPR: 14
; COMPUTE_PGM_RSRC2:TRAP_HANDLER: 0
; COMPUTE_PGM_RSRC2:TGID_X_EN: 1
; COMPUTE_PGM_RSRC2:TGID_Y_EN: 0
; COMPUTE_PGM_RSRC2:TGID_Z_EN: 1
; COMPUTE_PGM_RSRC2:TIDIG_COMP_CNT: 0
	.section	.text._ZL30rocblas_trtri_remainder_kernelILi16EfPKPKfPKPfEv13rocblas_fill_17rocblas_diagonal_iT1_lillT2_lilli,"axG",@progbits,_ZL30rocblas_trtri_remainder_kernelILi16EfPKPKfPKPfEv13rocblas_fill_17rocblas_diagonal_iT1_lillT2_lilli,comdat
	.globl	_ZL30rocblas_trtri_remainder_kernelILi16EfPKPKfPKPfEv13rocblas_fill_17rocblas_diagonal_iT1_lillT2_lilli ; -- Begin function _ZL30rocblas_trtri_remainder_kernelILi16EfPKPKfPKPfEv13rocblas_fill_17rocblas_diagonal_iT1_lillT2_lilli
	.p2align	8
	.type	_ZL30rocblas_trtri_remainder_kernelILi16EfPKPKfPKPfEv13rocblas_fill_17rocblas_diagonal_iT1_lillT2_lilli,@function
_ZL30rocblas_trtri_remainder_kernelILi16EfPKPKfPKPfEv13rocblas_fill_17rocblas_diagonal_iT1_lillT2_lilli: ; @_ZL30rocblas_trtri_remainder_kernelILi16EfPKPKfPKPfEv13rocblas_fill_17rocblas_diagonal_iT1_lillT2_lilli
; %bb.0:
	s_load_b128 s[8:11], s[0:1], 0x0
	s_waitcnt lgkmcnt(0)
	s_cmp_lt_i32 s10, 1
	s_cbranch_scc1 .LBB19_46
; %bb.1:
	s_clause 0x1
	s_load_b128 s[16:19], s[0:1], 0x30
	s_load_b64 s[20:21], s[0:1], 0x40
	s_mov_b32 s2, s15
	s_mov_b32 s3, 0
	s_delay_alu instid0(SALU_CYCLE_1)
	s_lshl_b64 s[22:23], s[2:3], 3
	s_waitcnt lgkmcnt(0)
	s_add_u32 s2, s18, s22
	s_addc_u32 s3, s19, s23
	s_load_b64 s[12:13], s[2:3], 0x0
	v_cmp_le_u32_e64 s3, s10, v0
	v_cmp_gt_u32_e64 s2, s10, v0
	s_delay_alu instid0(VALU_DEP_1)
	s_and_saveexec_b32 s11, s2
	s_cbranch_execz .LBB19_14
; %bb.2:
	s_clause 0x1
	s_load_b128 s[4:7], s[0:1], 0x10
	s_load_b32 s18, s[0:1], 0x20
	s_waitcnt lgkmcnt(0)
	s_add_u32 s4, s4, s22
	s_addc_u32 s5, s5, s23
	s_load_b64 s[22:23], s[4:5], 0x0
	s_mul_i32 s4, s14, s17
	s_mul_hi_u32 s5, s14, s16
	s_mul_i32 s16, s14, s16
	s_add_i32 s17, s5, s4
	s_cmpk_lg_i32 s8, 0x7a
	s_mov_b32 s4, -1
	s_cbranch_scc0 .LBB19_6
; %bb.3:
	s_ashr_i32 s19, s18, 31
	s_lshl_b32 s5, s10, 2
	s_ashr_i32 s4, s10, 31
	s_add_u32 s15, s10, -1
	s_addc_u32 s4, s4, -1
	s_mul_i32 s24, s15, s19
	s_mul_hi_u32 s25, s15, s18
	s_mul_i32 s4, s4, s18
	s_add_i32 s24, s25, s24
	s_lshl_b64 s[26:27], s[16:17], 2
	s_add_i32 s25, s24, s4
	s_mul_i32 s24, s15, s18
	v_lshlrev_b32_e32 v1, 2, v0
	s_lshl_b64 s[24:25], s[24:25], 2
	s_delay_alu instid0(SALU_CYCLE_1)
	s_add_u32 s4, s24, s26
	s_addc_u32 s15, s25, s27
	s_lshl_b64 s[24:25], s[6:7], 2
	v_sub_nc_u32_e32 v2, s5, v1
	s_add_u32 s4, s4, s24
	s_addc_u32 s15, s15, s25
	s_waitcnt lgkmcnt(0)
	s_add_u32 s4, s22, s4
	s_addc_u32 s15, s23, s15
	v_add_co_u32 v1, s4, s4, v1
	v_add_nc_u32_e32 v3, -4, v2
	s_lshl_b64 s[24:25], s[18:19], 2
	v_add_co_ci_u32_e64 v2, null, s15, 0, s4
	s_sub_u32 s15, 0, s24
	s_subb_u32 s24, 0, s25
	s_mov_b32 s19, 0
	s_mov_b32 s25, s10
.LBB19_4:                               ; =>This Inner Loop Header: Depth=1
	global_load_b32 v4, v[1:2], off
	s_add_i32 s25, s25, -1
	v_add_co_u32 v1, vcc_lo, v1, s15
	v_cmp_le_i32_e64 s4, s25, v0
	v_add_co_ci_u32_e32 v2, vcc_lo, s24, v2, vcc_lo
	s_delay_alu instid0(VALU_DEP_2)
	s_or_b32 s19, s4, s19
	s_waitcnt vmcnt(0)
	ds_store_b32 v3, v4
	v_add_nc_u32_e32 v3, s5, v3
	s_and_not1_b32 exec_lo, exec_lo, s19
	s_cbranch_execnz .LBB19_4
; %bb.5:
	s_or_b32 exec_lo, exec_lo, s19
	s_mov_b32 s4, 0
.LBB19_6:
	s_delay_alu instid0(SALU_CYCLE_1)
	s_and_b32 vcc_lo, exec_lo, s4
	s_cbranch_vccz .LBB19_14
; %bb.7:
	v_dual_mov_b32 v3, 0 :: v_dual_add_nc_u32 v4, 1, v0
	s_ashr_i32 s19, s18, 31
	s_mov_b32 s5, exec_lo
	v_cmpx_lt_u32_e32 2, v0
	s_cbranch_execz .LBB19_11
; %bb.8:
	s_lshl_b64 s[24:25], s[6:7], 2
	v_lshlrev_b32_e32 v5, 2, v0
	s_waitcnt lgkmcnt(0)
	s_add_u32 s4, s22, s24
	s_addc_u32 s15, s23, s25
	s_lshl_b64 s[24:25], s[16:17], 2
	v_and_b32_e32 v3, 0x7fc, v4
	s_add_u32 s4, s4, s24
	s_addc_u32 s15, s15, s25
	v_add_co_u32 v1, s4, s4, v5
	s_delay_alu instid0(VALU_DEP_1)
	v_add_co_ci_u32_e64 v2, null, s15, 0, s4
	s_mul_hi_i32 s15, s18, 12
	s_mul_i32 s30, s18, 12
	s_lshl_b64 s[24:25], s[18:19], 4
	s_lshl_b64 s[26:27], s[18:19], 3
	;; [unrolled: 1-line block ×3, first 2 shown]
	s_lshl_b32 s31, s10, 2
	s_lshl_b32 s33, s10, 4
	;; [unrolled: 1-line block ×3, first 2 shown]
	s_mul_i32 s36, s10, 12
	s_mov_b32 s35, 0
	s_mov_b32 s37, 0
	s_set_inst_prefetch_distance 0x1
	.p2align	6
.LBB19_9:                               ; =>This Inner Loop Header: Depth=1
	v_add_co_u32 v6, vcc_lo, v1, s28
	v_add_co_ci_u32_e32 v7, vcc_lo, s29, v2, vcc_lo
	v_add_co_u32 v8, vcc_lo, v1, s26
	v_add_co_ci_u32_e32 v9, vcc_lo, s27, v2, vcc_lo
	;; [unrolled: 2-line block ×3, first 2 shown]
	s_clause 0x3
	global_load_b32 v12, v[1:2], off
	global_load_b32 v6, v[6:7], off
	;; [unrolled: 1-line block ×4, first 2 shown]
	s_add_i32 s37, s37, 4
	v_add_co_u32 v1, s4, v1, s24
	v_cmp_eq_u32_e32 vcc_lo, s37, v3
	v_add_nc_u32_e32 v9, s31, v5
	v_add_nc_u32_e32 v10, s34, v5
	;; [unrolled: 1-line block ×3, first 2 shown]
	v_add_co_ci_u32_e64 v2, s4, s25, v2, s4
	s_or_b32 s35, vcc_lo, s35
	s_waitcnt vmcnt(3)
	ds_store_b32 v5, v12
	v_add_nc_u32_e32 v5, s33, v5
	s_waitcnt vmcnt(2)
	ds_store_b32 v9, v6
	s_waitcnt vmcnt(1)
	ds_store_b32 v10, v7
	;; [unrolled: 2-line block ×3, first 2 shown]
	s_and_not1_b32 exec_lo, exec_lo, s35
	s_cbranch_execnz .LBB19_9
; %bb.10:
	s_set_inst_prefetch_distance 0x2
	s_or_b32 exec_lo, exec_lo, s35
.LBB19_11:
	s_delay_alu instid0(SALU_CYCLE_1) | instskip(SKIP_2) | instid1(VALU_DEP_1)
	s_or_b32 exec_lo, exec_lo, s5
	v_and_b32_e32 v4, 3, v4
	s_mov_b32 s5, 0
	v_cmp_ne_u32_e32 vcc_lo, 0, v4
	s_and_b32 exec_lo, exec_lo, vcc_lo
	s_cbranch_execz .LBB19_14
; %bb.12:
	v_mad_i64_i32 v[1:2], null, s18, v3, 0
	s_lshl_b64 s[16:17], s[16:17], 2
	s_lshl_b64 s[6:7], s[6:7], 2
	s_lshl_b32 s15, s10, 2
	s_add_u32 s4, s6, s16
	v_lshlrev_b32_e32 v5, 2, v0
	s_addc_u32 s6, s7, s17
	s_delay_alu instid0(VALU_DEP_2) | instskip(SKIP_1) | instid1(VALU_DEP_2)
	v_lshlrev_b64 v[1:2], 2, v[1:2]
	v_mul_lo_u32 v3, v3, s10
	v_add_co_u32 v1, vcc_lo, s4, v1
	s_delay_alu instid0(VALU_DEP_3) | instskip(NEXT) | instid1(VALU_DEP_3)
	v_add_co_ci_u32_e32 v2, vcc_lo, s6, v2, vcc_lo
	v_add_lshl_u32 v3, v0, v3, 2
	s_delay_alu instid0(VALU_DEP_3) | instskip(NEXT) | instid1(VALU_DEP_3)
	v_add_co_u32 v1, vcc_lo, v1, v5
	v_add_co_ci_u32_e32 v2, vcc_lo, 0, v2, vcc_lo
	s_lshl_b64 s[6:7], s[18:19], 2
	s_waitcnt lgkmcnt(0)
	s_delay_alu instid0(VALU_DEP_2) | instskip(NEXT) | instid1(VALU_DEP_2)
	v_add_co_u32 v1, vcc_lo, s22, v1
	v_add_co_ci_u32_e32 v2, vcc_lo, s23, v2, vcc_lo
.LBB19_13:                              ; =>This Inner Loop Header: Depth=1
	global_load_b32 v5, v[1:2], off
	v_add_nc_u32_e32 v4, -1, v4
	v_add_co_u32 v1, vcc_lo, v1, s6
	v_add_co_ci_u32_e32 v2, vcc_lo, s7, v2, vcc_lo
	s_delay_alu instid0(VALU_DEP_3) | instskip(NEXT) | instid1(VALU_DEP_1)
	v_cmp_eq_u32_e64 s4, 0, v4
	s_or_b32 s5, s4, s5
	s_waitcnt vmcnt(0)
	ds_store_b32 v3, v5
	v_add_nc_u32_e32 v3, s15, v3
	s_and_not1_b32 exec_lo, exec_lo, s5
	s_cbranch_execnz .LBB19_13
.LBB19_14:
	s_or_b32 exec_lo, exec_lo, s11
	s_waitcnt lgkmcnt(0)
	s_barrier
	buffer_gl0_inv
                                        ; implicit-def: $vgpr1
	s_and_saveexec_b32 s4, s3
	s_delay_alu instid0(SALU_CYCLE_1)
	s_xor_b32 s3, exec_lo, s4
; %bb.15:
	v_mad_u64_u32 v[1:2], null, v0, s10, v[0:1]
; %bb.16:
	s_and_not1_saveexec_b32 s3, s3
	s_cbranch_execz .LBB19_22
; %bb.17:
	s_delay_alu instid0(VALU_DEP_1) | instskip(SKIP_2) | instid1(VALU_DEP_2)
	v_mad_u64_u32 v[1:2], null, v0, s10, v[0:1]
	v_mov_b32_e32 v4, 1.0
	s_cmpk_eq_i32 s9, 0x84
	v_lshlrev_b32_e32 v2, 2, v1
	s_cbranch_scc1 .LBB19_21
; %bb.18:
	ds_load_b32 v3, v2
	v_mov_b32_e32 v4, 1.0
	s_mov_b32 s4, exec_lo
	s_waitcnt lgkmcnt(0)
	v_cmpx_neq_f32_e32 0, v3
; %bb.19:
	v_div_scale_f32 v4, null, v3, v3, 1.0
	s_delay_alu instid0(VALU_DEP_1) | instskip(SKIP_2) | instid1(VALU_DEP_1)
	v_rcp_f32_e32 v5, v4
	s_waitcnt_depctr 0xfff
	v_fma_f32 v6, -v4, v5, 1.0
	v_fmac_f32_e32 v5, v6, v5
	v_div_scale_f32 v6, vcc_lo, 1.0, v3, 1.0
	s_delay_alu instid0(VALU_DEP_1) | instskip(NEXT) | instid1(VALU_DEP_1)
	v_mul_f32_e32 v7, v6, v5
	v_fma_f32 v8, -v4, v7, v6
	s_delay_alu instid0(VALU_DEP_1) | instskip(NEXT) | instid1(VALU_DEP_1)
	v_fmac_f32_e32 v7, v8, v5
	v_fma_f32 v4, -v4, v7, v6
	s_delay_alu instid0(VALU_DEP_1) | instskip(NEXT) | instid1(VALU_DEP_1)
	v_div_fmas_f32 v4, v4, v5, v7
	v_div_fixup_f32 v4, v4, v3, 1.0
; %bb.20:
	s_or_b32 exec_lo, exec_lo, s4
.LBB19_21:
	ds_store_b32 v2, v4
.LBB19_22:
	s_or_b32 exec_lo, exec_lo, s3
	s_delay_alu instid0(VALU_DEP_1)
	v_lshlrev_b32_e32 v1, 2, v1
	v_add_lshl_u32 v2, v0, s10, 2
	s_lshl_b32 s11, s10, 2
	s_mov_b32 s3, 4
	s_add_i32 s4, s11, 4
	s_mov_b32 s5, 0
	s_waitcnt lgkmcnt(0)
	s_barrier
	buffer_gl0_inv
	s_branch .LBB19_24
.LBB19_23:                              ;   in Loop: Header=BB19_24 Depth=1
	s_set_inst_prefetch_distance 0x2
	v_add_nc_u32_e32 v2, s11, v2
	s_add_i32 s3, s3, s4
	s_cmp_eq_u32 s5, s10
	s_barrier
	buffer_gl0_inv
	s_cbranch_scc1 .LBB19_33
.LBB19_24:                              ; =>This Loop Header: Depth=1
                                        ;     Child Loop BB19_29 Depth 2
	s_mul_i32 s7, s5, s10
	v_mov_b32_e32 v4, 0
	v_add_lshl_u32 v3, s7, v0, 2
	s_mov_b32 s6, exec_lo
	v_cmpx_lt_u32_e64 s5, v0
	s_cbranch_execz .LBB19_26
; %bb.25:                               ;   in Loop: Header=BB19_24 Depth=1
	s_add_i32 s7, s7, s5
	s_delay_alu instid0(SALU_CYCLE_1) | instskip(NEXT) | instid1(SALU_CYCLE_1)
	s_lshl_b32 s7, s7, 2
	v_mov_b32_e32 v4, s7
	ds_load_b32 v5, v3
	ds_load_b32 v4, v4
	s_waitcnt lgkmcnt(0)
	v_fma_f32 v4, v5, v4, 0
.LBB19_26:                              ;   in Loop: Header=BB19_24 Depth=1
	s_or_b32 exec_lo, exec_lo, s6
	s_add_i32 s5, s5, 1
	s_delay_alu instid0(SALU_CYCLE_1)
	s_cmp_ge_i32 s5, s10
	s_barrier
	buffer_gl0_inv
	s_cbranch_scc1 .LBB19_23
; %bb.27:                               ;   in Loop: Header=BB19_24 Depth=1
	v_mov_b32_e32 v5, v2
	s_mov_b32 s6, s3
	s_mov_b32 s7, s5
	s_set_inst_prefetch_distance 0x1
	s_branch .LBB19_29
	.p2align	6
.LBB19_28:                              ;   in Loop: Header=BB19_29 Depth=2
	s_or_b32 exec_lo, exec_lo, s9
	v_add_nc_u32_e32 v5, s11, v5
	s_add_i32 s7, s7, 1
	s_add_i32 s6, s6, 4
	s_cmp_ge_i32 s7, s10
	s_barrier
	buffer_gl0_inv
	s_cbranch_scc1 .LBB19_23
.LBB19_29:                              ;   Parent Loop BB19_24 Depth=1
                                        ; =>  This Inner Loop Header: Depth=2
	s_mov_b32 s9, exec_lo
	v_cmpx_eq_u32_e64 s7, v0
	s_cbranch_execz .LBB19_31
; %bb.30:                               ;   in Loop: Header=BB19_29 Depth=2
	ds_load_b32 v6, v1
	s_waitcnt lgkmcnt(0)
	v_mul_f32_e64 v6, -v4, v6
	ds_store_b32 v3, v6
.LBB19_31:                              ;   in Loop: Header=BB19_29 Depth=2
	s_or_b32 exec_lo, exec_lo, s9
	s_delay_alu instid0(SALU_CYCLE_1)
	s_mov_b32 s9, exec_lo
	s_waitcnt lgkmcnt(0)
	s_barrier
	buffer_gl0_inv
	v_cmpx_lt_u32_e64 s7, v0
	s_cbranch_execz .LBB19_28
; %bb.32:                               ;   in Loop: Header=BB19_29 Depth=2
	v_mov_b32_e32 v6, s6
	ds_load_b32 v7, v5
	ds_load_b32 v6, v6
	s_waitcnt lgkmcnt(0)
	v_fmac_f32_e32 v4, v7, v6
	s_branch .LBB19_28
.LBB19_33:
	s_and_saveexec_b32 s3, s2
	s_cbranch_execz .LBB19_46
; %bb.34:
	s_clause 0x1
	s_load_b64 s[4:5], s[0:1], 0x58
	s_load_b32 s2, s[0:1], 0x48
	v_lshlrev_b32_e32 v3, 2, v0
	s_waitcnt lgkmcnt(0)
	s_mul_i32 s0, s14, s5
	s_mul_hi_u32 s1, s14, s4
	s_mul_i32 s4, s14, s4
	s_add_i32 s5, s1, s0
	s_cmpk_lg_i32 s8, 0x7a
	s_mov_b32 s0, -1
	s_cbranch_scc0 .LBB19_38
; %bb.35:
	s_add_i32 s0, s10, -1
	s_ashr_i32 s3, s2, 31
	s_mul_hi_u32 s6, s2, s0
	s_mul_i32 s1, s3, s0
	s_mul_i32 s0, s2, s0
	s_add_i32 s1, s6, s1
	s_lshl_b64 s[6:7], s[4:5], 2
	s_lshl_b64 s[0:1], s[0:1], 2
	v_lshlrev_b32_e32 v1, 2, v0
	s_add_u32 s6, s6, s0
	s_addc_u32 s7, s7, s1
	s_lshl_b64 s[0:1], s[20:21], 2
	s_delay_alu instid0(SALU_CYCLE_1)
	s_add_u32 s0, s6, s0
	s_addc_u32 s1, s7, s1
	v_sub_nc_u32_e32 v4, s11, v1
	s_add_u32 s0, s12, s0
	s_addc_u32 s1, s13, s1
	v_add_co_u32 v1, s0, s0, v1
	s_lshl_b64 s[6:7], s[2:3], 2
	v_add_co_ci_u32_e64 v2, null, s1, 0, s0
	v_add_nc_u32_e32 v4, -4, v4
	s_sub_u32 s1, 0, s6
	s_subb_u32 s6, 0, s7
	s_mov_b32 s3, 0
	s_mov_b32 s7, s10
.LBB19_36:                              ; =>This Inner Loop Header: Depth=1
	ds_load_b32 v5, v4
	s_add_i32 s7, s7, -1
	v_add_nc_u32_e32 v4, s11, v4
	v_cmp_le_i32_e32 vcc_lo, s7, v0
	s_or_b32 s3, vcc_lo, s3
	s_waitcnt lgkmcnt(0)
	global_store_b32 v[1:2], v5, off
	v_add_co_u32 v1, s0, v1, s1
	s_delay_alu instid0(VALU_DEP_1)
	v_add_co_ci_u32_e64 v2, s0, s6, v2, s0
	s_and_not1_b32 exec_lo, exec_lo, s3
	s_cbranch_execnz .LBB19_36
; %bb.37:
	s_or_b32 exec_lo, exec_lo, s3
	s_mov_b32 s0, 0
.LBB19_38:
	s_delay_alu instid0(SALU_CYCLE_1)
	s_and_b32 vcc_lo, exec_lo, s0
	s_cbranch_vccz .LBB19_46
; %bb.39:
	v_dual_mov_b32 v4, 0 :: v_dual_add_nc_u32 v5, 1, v0
	s_ashr_i32 s3, s2, 31
	s_mov_b32 s1, exec_lo
	v_cmpx_lt_u32_e32 2, v0
	s_cbranch_execz .LBB19_43
; %bb.40:
	s_lshl_b64 s[6:7], s[20:21], 2
	v_and_b32_e32 v4, 0x7fc, v5
	s_add_u32 s0, s12, s6
	s_addc_u32 s8, s13, s7
	s_lshl_b64 s[6:7], s[4:5], 2
	v_mov_b32_e32 v6, v3
	s_add_u32 s0, s0, s6
	s_addc_u32 s6, s8, s7
	v_add_co_u32 v1, s0, s0, v3
	s_delay_alu instid0(VALU_DEP_1)
	v_add_co_ci_u32_e64 v2, null, s6, 0, s0
	s_mul_hi_i32 s16, s2, 12
	s_mul_i32 s17, s2, 12
	s_lshl_b64 s[6:7], s[2:3], 4
	s_lshl_b64 s[8:9], s[2:3], 3
	s_lshl_b64 s[14:15], s[2:3], 2
	s_lshl_b32 s18, s10, 4
	s_lshl_b32 s19, s10, 3
	s_mul_i32 s23, s10, 12
	s_mov_b32 s22, 0
	s_mov_b32 s24, 0
	s_set_inst_prefetch_distance 0x1
	.p2align	6
.LBB19_41:                              ; =>This Inner Loop Header: Depth=1
	ds_load_b32 v13, v6
	v_add_nc_u32_e32 v9, s11, v6
	v_add_nc_u32_e32 v10, s19, v6
	;; [unrolled: 1-line block ×3, first 2 shown]
	v_add_co_u32 v7, vcc_lo, v1, s14
	ds_load_b32 v14, v9
	ds_load_b32 v15, v10
	;; [unrolled: 1-line block ×3, first 2 shown]
	v_add_co_ci_u32_e32 v8, vcc_lo, s15, v2, vcc_lo
	v_add_co_u32 v9, vcc_lo, v1, s8
	v_add_co_ci_u32_e32 v10, vcc_lo, s9, v2, vcc_lo
	v_add_co_u32 v11, vcc_lo, v1, s17
	s_add_i32 s24, s24, 4
	v_add_co_ci_u32_e32 v12, vcc_lo, s16, v2, vcc_lo
	v_cmp_eq_u32_e32 vcc_lo, s24, v4
	v_add_nc_u32_e32 v6, s18, v6
	s_waitcnt lgkmcnt(3)
	global_store_b32 v[1:2], v13, off
	v_add_co_u32 v1, s0, v1, s6
	s_delay_alu instid0(VALU_DEP_1)
	v_add_co_ci_u32_e64 v2, s0, s7, v2, s0
	s_or_b32 s22, vcc_lo, s22
	s_waitcnt lgkmcnt(2)
	global_store_b32 v[7:8], v14, off
	s_waitcnt lgkmcnt(1)
	global_store_b32 v[9:10], v15, off
	;; [unrolled: 2-line block ×3, first 2 shown]
	s_and_not1_b32 exec_lo, exec_lo, s22
	s_cbranch_execnz .LBB19_41
; %bb.42:
	s_set_inst_prefetch_distance 0x2
	s_or_b32 exec_lo, exec_lo, s22
.LBB19_43:
	s_delay_alu instid0(SALU_CYCLE_1) | instskip(SKIP_2) | instid1(VALU_DEP_1)
	s_or_b32 exec_lo, exec_lo, s1
	v_and_b32_e32 v5, 3, v5
	s_mov_b32 s1, 0
	v_cmp_ne_u32_e32 vcc_lo, 0, v5
	s_and_b32 exec_lo, exec_lo, vcc_lo
	s_cbranch_execz .LBB19_46
; %bb.44:
	v_mad_i64_i32 v[1:2], null, s2, v4, 0
	s_lshl_b64 s[4:5], s[4:5], 2
	s_lshl_b64 s[6:7], s[20:21], 2
	v_mul_lo_u32 v4, v4, s10
	s_add_u32 s0, s6, s4
	s_addc_u32 s4, s7, s5
	s_lshl_b64 s[2:3], s[2:3], 2
	s_delay_alu instid0(VALU_DEP_2) | instskip(NEXT) | instid1(VALU_DEP_2)
	v_lshlrev_b64 v[1:2], 2, v[1:2]
	v_add_lshl_u32 v0, v0, v4, 2
	s_delay_alu instid0(VALU_DEP_2) | instskip(NEXT) | instid1(VALU_DEP_3)
	v_add_co_u32 v1, vcc_lo, s0, v1
	v_add_co_ci_u32_e32 v2, vcc_lo, s4, v2, vcc_lo
	s_delay_alu instid0(VALU_DEP_2) | instskip(NEXT) | instid1(VALU_DEP_2)
	v_add_co_u32 v1, vcc_lo, v1, v3
	v_add_co_ci_u32_e32 v2, vcc_lo, 0, v2, vcc_lo
	s_delay_alu instid0(VALU_DEP_2) | instskip(NEXT) | instid1(VALU_DEP_2)
	v_add_co_u32 v1, vcc_lo, s12, v1
	v_add_co_ci_u32_e32 v2, vcc_lo, s13, v2, vcc_lo
.LBB19_45:                              ; =>This Inner Loop Header: Depth=1
	ds_load_b32 v3, v0
	v_add_nc_u32_e32 v5, -1, v5
	v_add_nc_u32_e32 v0, s11, v0
	s_delay_alu instid0(VALU_DEP_2) | instskip(SKIP_4) | instid1(VALU_DEP_1)
	v_cmp_eq_u32_e32 vcc_lo, 0, v5
	s_or_b32 s1, vcc_lo, s1
	s_waitcnt lgkmcnt(0)
	global_store_b32 v[1:2], v3, off
	v_add_co_u32 v1, s0, v1, s2
	v_add_co_ci_u32_e64 v2, s0, s3, v2, s0
	s_and_not1_b32 exec_lo, exec_lo, s1
	s_cbranch_execnz .LBB19_45
.LBB19_46:
	s_nop 0
	s_sendmsg sendmsg(MSG_DEALLOC_VGPRS)
	s_endpgm
	.section	.rodata,"a",@progbits
	.p2align	6, 0x0
	.amdhsa_kernel _ZL30rocblas_trtri_remainder_kernelILi16EfPKPKfPKPfEv13rocblas_fill_17rocblas_diagonal_iT1_lillT2_lilli
		.amdhsa_group_segment_fixed_size 4096
		.amdhsa_private_segment_fixed_size 0
		.amdhsa_kernarg_size 100
		.amdhsa_user_sgpr_count 14
		.amdhsa_user_sgpr_dispatch_ptr 0
		.amdhsa_user_sgpr_queue_ptr 0
		.amdhsa_user_sgpr_kernarg_segment_ptr 1
		.amdhsa_user_sgpr_dispatch_id 0
		.amdhsa_user_sgpr_private_segment_size 0
		.amdhsa_wavefront_size32 1
		.amdhsa_uses_dynamic_stack 0
		.amdhsa_enable_private_segment 0
		.amdhsa_system_sgpr_workgroup_id_x 1
		.amdhsa_system_sgpr_workgroup_id_y 0
		.amdhsa_system_sgpr_workgroup_id_z 1
		.amdhsa_system_sgpr_workgroup_info 0
		.amdhsa_system_vgpr_workitem_id 0
		.amdhsa_next_free_vgpr 17
		.amdhsa_next_free_sgpr 38
		.amdhsa_reserve_vcc 1
		.amdhsa_float_round_mode_32 0
		.amdhsa_float_round_mode_16_64 0
		.amdhsa_float_denorm_mode_32 3
		.amdhsa_float_denorm_mode_16_64 3
		.amdhsa_dx10_clamp 1
		.amdhsa_ieee_mode 1
		.amdhsa_fp16_overflow 0
		.amdhsa_workgroup_processor_mode 1
		.amdhsa_memory_ordered 1
		.amdhsa_forward_progress 0
		.amdhsa_shared_vgpr_count 0
		.amdhsa_exception_fp_ieee_invalid_op 0
		.amdhsa_exception_fp_denorm_src 0
		.amdhsa_exception_fp_ieee_div_zero 0
		.amdhsa_exception_fp_ieee_overflow 0
		.amdhsa_exception_fp_ieee_underflow 0
		.amdhsa_exception_fp_ieee_inexact 0
		.amdhsa_exception_int_div_zero 0
	.end_amdhsa_kernel
	.section	.text._ZL30rocblas_trtri_remainder_kernelILi16EfPKPKfPKPfEv13rocblas_fill_17rocblas_diagonal_iT1_lillT2_lilli,"axG",@progbits,_ZL30rocblas_trtri_remainder_kernelILi16EfPKPKfPKPfEv13rocblas_fill_17rocblas_diagonal_iT1_lillT2_lilli,comdat
.Lfunc_end19:
	.size	_ZL30rocblas_trtri_remainder_kernelILi16EfPKPKfPKPfEv13rocblas_fill_17rocblas_diagonal_iT1_lillT2_lilli, .Lfunc_end19-_ZL30rocblas_trtri_remainder_kernelILi16EfPKPKfPKPfEv13rocblas_fill_17rocblas_diagonal_iT1_lillT2_lilli
                                        ; -- End function
	.section	.AMDGPU.csdata,"",@progbits
; Kernel info:
; codeLenInByte = 2256
; NumSgprs: 40
; NumVgprs: 17
; ScratchSize: 0
; MemoryBound: 0
; FloatMode: 240
; IeeeMode: 1
; LDSByteSize: 4096 bytes/workgroup (compile time only)
; SGPRBlocks: 4
; VGPRBlocks: 2
; NumSGPRsForWavesPerEU: 40
; NumVGPRsForWavesPerEU: 17
; Occupancy: 16
; WaveLimiterHint : 0
; COMPUTE_PGM_RSRC2:SCRATCH_EN: 0
; COMPUTE_PGM_RSRC2:USER_SGPR: 14
; COMPUTE_PGM_RSRC2:TRAP_HANDLER: 0
; COMPUTE_PGM_RSRC2:TGID_X_EN: 1
; COMPUTE_PGM_RSRC2:TGID_Y_EN: 0
; COMPUTE_PGM_RSRC2:TGID_Z_EN: 1
; COMPUTE_PGM_RSRC2:TIDIG_COMP_CNT: 0
	.section	.text._ZL18rocblas_trtri_fillILi128EdPKPdEvP15_rocblas_handle13rocblas_fill_ililT1_llii,"axG",@progbits,_ZL18rocblas_trtri_fillILi128EdPKPdEvP15_rocblas_handle13rocblas_fill_ililT1_llii,comdat
	.globl	_ZL18rocblas_trtri_fillILi128EdPKPdEvP15_rocblas_handle13rocblas_fill_ililT1_llii ; -- Begin function _ZL18rocblas_trtri_fillILi128EdPKPdEvP15_rocblas_handle13rocblas_fill_ililT1_llii
	.p2align	8
	.type	_ZL18rocblas_trtri_fillILi128EdPKPdEvP15_rocblas_handle13rocblas_fill_ililT1_llii,@function
_ZL18rocblas_trtri_fillILi128EdPKPdEvP15_rocblas_handle13rocblas_fill_ililT1_llii: ; @_ZL18rocblas_trtri_fillILi128EdPKPdEvP15_rocblas_handle13rocblas_fill_ililT1_llii
; %bb.0:
	s_clause 0x1
	s_load_b64 s[2:3], s[0:1], 0x10
	s_load_b32 s6, s[0:1], 0x40
	s_mov_b32 s12, s15
	s_mov_b32 s15, 0
	s_delay_alu instid0(SALU_CYCLE_1) | instskip(NEXT) | instid1(SALU_CYCLE_1)
	s_lshl_b64 s[4:5], s[14:15], 7
	v_mov_b32_e32 v1, s5
	v_or_b32_e32 v0, s4, v0
	s_waitcnt lgkmcnt(0)
	s_mul_i32 s4, s6, s3
	s_mul_hi_u32 s5, s6, s2
	s_ashr_i32 s7, s6, 31
	s_add_i32 s4, s5, s4
	s_mul_i32 s7, s7, s2
	s_mul_i32 s8, s6, s2
	s_add_i32 s9, s4, s7
	s_mov_b32 s4, exec_lo
	v_cmpx_gt_u64_e64 s[8:9], v[0:1]
	s_cbranch_execz .LBB20_16
; %bb.1:
	s_clause 0x1
	s_load_b32 s10, s[0:1], 0x18
	s_load_b128 s[4:7], s[0:1], 0x20
	s_mov_b32 s13, s15
	s_load_b64 s[16:17], s[0:1], 0x30
	s_lshl_b64 s[12:13], s[12:13], 3
	v_cvt_f32_u32_e32 v4, s2
	v_cvt_f32_u32_e32 v2, s2
	;; [unrolled: 1-line block ×3, first 2 shown]
	s_delay_alu instid0(VALU_DEP_3) | instskip(NEXT) | instid1(VALU_DEP_1)
	v_rcp_iflag_f32_e32 v4, v4
	v_fmamk_f32 v5, v3, 0x4f800000, v2
	s_delay_alu instid0(VALU_DEP_1)
	v_rcp_f32_e32 v5, v5
	s_waitcnt_depctr 0xfff
	v_mul_f32_e32 v4, 0x4f7ffffe, v4
	s_waitcnt lgkmcnt(0)
	s_ashr_i32 s11, s10, 31
	s_add_u32 s6, s6, s12
	s_addc_u32 s7, s7, s13
	s_load_b64 s[12:13], s[6:7], 0x0
	s_load_b64 s[6:7], s[0:1], 0x8
	s_lshl_b64 s[16:17], s[16:17], 3
	v_cvt_u32_f32_e32 v6, v4
	v_mul_f32_e32 v5, 0x5f7ffffc, v5
	s_clause 0x1
	s_load_b32 s20, s[0:1], 0x48
	s_load_b32 s0, s[0:1], 0x54
	s_delay_alu instid0(VALU_DEP_1) | instskip(NEXT) | instid1(VALU_DEP_1)
	v_mul_f32_e32 v4, 0x2f800000, v5
	v_trunc_f32_e32 v8, v4
	s_delay_alu instid0(VALU_DEP_1)
	v_dual_mov_b32 v4, 0 :: v_dual_fmamk_f32 v5, v8, 0xcf800000, v5
	s_waitcnt lgkmcnt(0)
	s_add_u32 s14, s12, s16
	s_addc_u32 s16, s13, s17
	s_add_i32 s12, s7, -2
	s_ashr_i32 s17, s7, 31
	v_cvt_f64_i32_e32 v[2:3], s12
	s_add_i32 s12, s7, -1
	v_cvt_u32_f32_e32 v11, v5
	s_mul_hi_i32 s13, s12, s7
	s_mul_i32 s12, s12, s7
	v_cvt_u32_f32_e32 v12, v8
	s_lshl_b64 s[18:19], s[12:13], 2
	s_delay_alu instid0(SALU_CYCLE_1)
	s_add_u32 s1, s18, -7
	s_addc_u32 s18, s19, -1
	s_sub_i32 s19, 0, s2
	s_and_b32 s0, s0, 0xffff
	v_mul_lo_u32 v7, s19, v6
	s_lshr_b64 s[12:13], s[12:13], 1
	s_mul_hi_u32 s19, s0, s20
	s_mul_i32 s20, s0, s20
	s_delay_alu instid0(VALU_DEP_1) | instskip(NEXT) | instid1(VALU_DEP_1)
	v_mul_hi_u32 v7, v6, v7
	v_add_nc_u32_e32 v13, v6, v7
	s_branch .LBB20_3
.LBB20_2:                               ;   in Loop: Header=BB20_3 Depth=1
	v_add_co_u32 v0, vcc_lo, v0, s20
	v_add_co_ci_u32_e32 v1, vcc_lo, s19, v1, vcc_lo
	s_delay_alu instid0(VALU_DEP_1) | instskip(SKIP_1) | instid1(SALU_CYCLE_1)
	v_cmp_le_u64_e32 vcc_lo, s[8:9], v[0:1]
	s_or_b32 s15, vcc_lo, s15
	s_and_not1_b32 exec_lo, exec_lo, s15
	s_cbranch_execz .LBB20_16
.LBB20_3:                               ; =>This Inner Loop Header: Depth=1
	v_or_b32_e32 v5, s3, v1
	s_delay_alu instid0(VALU_DEP_1) | instskip(SKIP_1) | instid1(SALU_CYCLE_1)
	v_cmp_ne_u64_e32 vcc_lo, 0, v[4:5]
                                        ; implicit-def: $vgpr5_vgpr6
	s_and_saveexec_b32 s0, vcc_lo
	s_xor_b32 s21, exec_lo, s0
	s_cbranch_execz .LBB20_5
; %bb.4:                                ;   in Loop: Header=BB20_3 Depth=1
	s_sub_u32 s0, 0, s2
	s_subb_u32 s22, 0, s3
	v_mul_hi_u32 v5, s0, v11
	v_mul_lo_u32 v6, s0, v12
	v_mul_lo_u32 v7, s22, v11
	s_delay_alu instid0(VALU_DEP_2) | instskip(SKIP_1) | instid1(VALU_DEP_2)
	v_add_nc_u32_e32 v5, v5, v6
	v_mul_lo_u32 v6, s0, v11
	v_add_nc_u32_e32 v5, v5, v7
	s_delay_alu instid0(VALU_DEP_2) | instskip(NEXT) | instid1(VALU_DEP_2)
	v_mul_hi_u32 v7, v11, v6
	v_mul_lo_u32 v8, v11, v5
	v_mul_hi_u32 v9, v11, v5
	v_mul_hi_u32 v10, v12, v6
	v_mul_lo_u32 v6, v12, v6
	v_mul_hi_u32 v14, v12, v5
	v_mul_lo_u32 v5, v12, v5
	v_add_co_u32 v7, vcc_lo, v7, v8
	v_add_co_ci_u32_e32 v8, vcc_lo, 0, v9, vcc_lo
	s_delay_alu instid0(VALU_DEP_2) | instskip(NEXT) | instid1(VALU_DEP_2)
	v_add_co_u32 v6, vcc_lo, v7, v6
	v_add_co_ci_u32_e32 v6, vcc_lo, v8, v10, vcc_lo
	v_add_co_ci_u32_e32 v7, vcc_lo, 0, v14, vcc_lo
	s_delay_alu instid0(VALU_DEP_2) | instskip(NEXT) | instid1(VALU_DEP_2)
	v_add_co_u32 v5, vcc_lo, v6, v5
	v_add_co_ci_u32_e32 v6, vcc_lo, 0, v7, vcc_lo
	s_delay_alu instid0(VALU_DEP_2) | instskip(NEXT) | instid1(VALU_DEP_2)
	v_add_co_u32 v5, vcc_lo, v11, v5
	v_add_co_ci_u32_e32 v6, vcc_lo, v12, v6, vcc_lo
	s_delay_alu instid0(VALU_DEP_2) | instskip(SKIP_1) | instid1(VALU_DEP_3)
	v_mul_hi_u32 v7, s0, v5
	v_mul_lo_u32 v9, s22, v5
	v_mul_lo_u32 v8, s0, v6
	s_delay_alu instid0(VALU_DEP_1) | instskip(SKIP_1) | instid1(VALU_DEP_2)
	v_add_nc_u32_e32 v7, v7, v8
	v_mul_lo_u32 v8, s0, v5
	v_add_nc_u32_e32 v7, v7, v9
	s_delay_alu instid0(VALU_DEP_2) | instskip(NEXT) | instid1(VALU_DEP_2)
	v_mul_hi_u32 v9, v5, v8
	v_mul_lo_u32 v10, v5, v7
	v_mul_hi_u32 v14, v5, v7
	v_mul_hi_u32 v15, v6, v8
	v_mul_lo_u32 v8, v6, v8
	v_mul_hi_u32 v16, v6, v7
	v_mul_lo_u32 v7, v6, v7
	v_add_co_u32 v9, vcc_lo, v9, v10
	v_add_co_ci_u32_e32 v10, vcc_lo, 0, v14, vcc_lo
	s_delay_alu instid0(VALU_DEP_2) | instskip(NEXT) | instid1(VALU_DEP_2)
	v_add_co_u32 v8, vcc_lo, v9, v8
	v_add_co_ci_u32_e32 v8, vcc_lo, v10, v15, vcc_lo
	v_add_co_ci_u32_e32 v9, vcc_lo, 0, v16, vcc_lo
	s_delay_alu instid0(VALU_DEP_2) | instskip(NEXT) | instid1(VALU_DEP_2)
	v_add_co_u32 v7, vcc_lo, v8, v7
	v_add_co_ci_u32_e32 v8, vcc_lo, 0, v9, vcc_lo
	s_delay_alu instid0(VALU_DEP_2) | instskip(NEXT) | instid1(VALU_DEP_2)
	v_add_co_u32 v9, vcc_lo, v5, v7
	v_add_co_ci_u32_e32 v14, vcc_lo, v6, v8, vcc_lo
	s_delay_alu instid0(VALU_DEP_2) | instskip(SKIP_1) | instid1(VALU_DEP_3)
	v_mul_hi_u32 v15, v0, v9
	v_mad_u64_u32 v[7:8], null, v1, v9, 0
	v_mad_u64_u32 v[5:6], null, v0, v14, 0
	;; [unrolled: 1-line block ×3, first 2 shown]
	s_delay_alu instid0(VALU_DEP_2) | instskip(NEXT) | instid1(VALU_DEP_3)
	v_add_co_u32 v5, vcc_lo, v15, v5
	v_add_co_ci_u32_e32 v6, vcc_lo, 0, v6, vcc_lo
	s_delay_alu instid0(VALU_DEP_2) | instskip(NEXT) | instid1(VALU_DEP_2)
	v_add_co_u32 v5, vcc_lo, v5, v7
	v_add_co_ci_u32_e32 v5, vcc_lo, v6, v8, vcc_lo
	v_add_co_ci_u32_e32 v6, vcc_lo, 0, v10, vcc_lo
	s_delay_alu instid0(VALU_DEP_2) | instskip(NEXT) | instid1(VALU_DEP_2)
	v_add_co_u32 v7, vcc_lo, v5, v9
	v_add_co_ci_u32_e32 v8, vcc_lo, 0, v6, vcc_lo
	s_delay_alu instid0(VALU_DEP_2) | instskip(SKIP_1) | instid1(VALU_DEP_3)
	v_mul_lo_u32 v9, s3, v7
	v_mad_u64_u32 v[5:6], null, s2, v7, 0
	v_mul_lo_u32 v10, s2, v8
	s_delay_alu instid0(VALU_DEP_2) | instskip(NEXT) | instid1(VALU_DEP_2)
	v_sub_co_u32 v5, vcc_lo, v0, v5
	v_add3_u32 v6, v6, v10, v9
	s_delay_alu instid0(VALU_DEP_1) | instskip(NEXT) | instid1(VALU_DEP_1)
	v_sub_nc_u32_e32 v9, v1, v6
	v_subrev_co_ci_u32_e64 v9, s0, s3, v9, vcc_lo
	v_add_co_u32 v10, s0, v7, 2
	s_delay_alu instid0(VALU_DEP_1) | instskip(SKIP_3) | instid1(VALU_DEP_3)
	v_add_co_ci_u32_e64 v14, s0, 0, v8, s0
	v_sub_co_u32 v15, s0, v5, s2
	v_sub_co_ci_u32_e32 v6, vcc_lo, v1, v6, vcc_lo
	v_subrev_co_ci_u32_e64 v9, s0, 0, v9, s0
	v_cmp_le_u32_e32 vcc_lo, s2, v15
	s_delay_alu instid0(VALU_DEP_3) | instskip(SKIP_1) | instid1(VALU_DEP_4)
	v_cmp_eq_u32_e64 s0, s3, v6
	v_cndmask_b32_e64 v15, 0, -1, vcc_lo
	v_cmp_le_u32_e32 vcc_lo, s3, v9
	v_cndmask_b32_e64 v16, 0, -1, vcc_lo
	v_cmp_le_u32_e32 vcc_lo, s2, v5
	v_cndmask_b32_e64 v5, 0, -1, vcc_lo
	v_cmp_le_u32_e32 vcc_lo, s3, v6
	v_cndmask_b32_e64 v17, 0, -1, vcc_lo
	v_cmp_eq_u32_e32 vcc_lo, s3, v9
	s_delay_alu instid0(VALU_DEP_2) | instskip(SKIP_3) | instid1(VALU_DEP_3)
	v_cndmask_b32_e64 v5, v17, v5, s0
	v_cndmask_b32_e32 v9, v16, v15, vcc_lo
	v_add_co_u32 v15, vcc_lo, v7, 1
	v_add_co_ci_u32_e32 v16, vcc_lo, 0, v8, vcc_lo
	v_cmp_ne_u32_e32 vcc_lo, 0, v9
	s_delay_alu instid0(VALU_DEP_2) | instskip(NEXT) | instid1(VALU_DEP_4)
	v_cndmask_b32_e32 v6, v16, v14, vcc_lo
	v_cndmask_b32_e32 v9, v15, v10, vcc_lo
	v_cmp_ne_u32_e32 vcc_lo, 0, v5
	s_delay_alu instid0(VALU_DEP_2)
	v_dual_cndmask_b32 v6, v8, v6 :: v_dual_cndmask_b32 v5, v7, v9
.LBB20_5:                               ;   in Loop: Header=BB20_3 Depth=1
	s_and_not1_saveexec_b32 s0, s21
; %bb.6:                                ;   in Loop: Header=BB20_3 Depth=1
	v_mul_hi_u32 v5, v0, v13
	s_delay_alu instid0(VALU_DEP_1) | instskip(NEXT) | instid1(VALU_DEP_1)
	v_mul_lo_u32 v6, v5, s2
	v_sub_nc_u32_e32 v6, v0, v6
	s_delay_alu instid0(VALU_DEP_1) | instskip(SKIP_1) | instid1(VALU_DEP_2)
	v_subrev_nc_u32_e32 v8, s2, v6
	v_cmp_le_u32_e32 vcc_lo, s2, v6
	v_dual_cndmask_b32 v6, v6, v8 :: v_dual_add_nc_u32 v7, 1, v5
	s_delay_alu instid0(VALU_DEP_1) | instskip(NEXT) | instid1(VALU_DEP_2)
	v_cndmask_b32_e32 v5, v5, v7, vcc_lo
	v_cmp_le_u32_e32 vcc_lo, s2, v6
	s_delay_alu instid0(VALU_DEP_2) | instskip(NEXT) | instid1(VALU_DEP_1)
	v_dual_mov_b32 v6, v4 :: v_dual_add_nc_u32 v7, 1, v5
	v_cndmask_b32_e32 v5, v5, v7, vcc_lo
; %bb.7:                                ;   in Loop: Header=BB20_3 Depth=1
	s_or_b32 exec_lo, exec_lo, s0
	s_delay_alu instid0(VALU_DEP_2) | instskip(NEXT) | instid1(VALU_DEP_2)
	v_mul_lo_u32 v9, v6, s2
	v_mul_lo_u32 v10, v5, s3
	v_mad_u64_u32 v[7:8], null, v5, s2, 0
	s_cmpk_lt_i32 s6, 0x7a
	s_delay_alu instid0(VALU_DEP_1) | instskip(NEXT) | instid1(VALU_DEP_2)
	v_add3_u32 v8, v8, v10, v9
	v_sub_co_u32 v7, vcc_lo, v0, v7
	s_delay_alu instid0(VALU_DEP_2)
	v_sub_co_ci_u32_e32 v8, vcc_lo, v1, v8, vcc_lo
	s_cbranch_scc1 .LBB20_10
; %bb.8:                                ;   in Loop: Header=BB20_3 Depth=1
	s_mov_b32 s0, 0
	s_cmpk_eq_i32 s6, 0x7a
	s_mov_b32 s21, 0
                                        ; implicit-def: $vgpr9_vgpr10
	s_cbranch_scc0 .LBB20_11
; %bb.9:                                ;   in Loop: Header=BB20_3 Depth=1
	v_lshlrev_b64 v[9:10], 3, v[7:8]
	s_mov_b32 s21, -1
	s_delay_alu instid0(VALU_DEP_1) | instskip(NEXT) | instid1(VALU_DEP_2)
	v_sub_co_u32 v14, vcc_lo, s1, v9
	v_sub_co_ci_u32_e32 v9, vcc_lo, s18, v10, vcc_lo
	s_delay_alu instid0(VALU_DEP_2) | instskip(NEXT) | instid1(VALU_DEP_2)
	v_cvt_f64_u32_e32 v[14:15], v14
	v_cvt_f64_u32_e32 v[9:10], v9
	s_delay_alu instid0(VALU_DEP_1) | instskip(NEXT) | instid1(VALU_DEP_1)
	v_ldexp_f64 v[9:10], v[9:10], 32
	v_add_f64 v[9:10], v[9:10], v[14:15]
	s_delay_alu instid0(VALU_DEP_1) | instskip(SKIP_1) | instid1(VALU_DEP_1)
	v_cmp_gt_f64_e32 vcc_lo, 0x10000000, v[9:10]
	v_cndmask_b32_e64 v14, 0, 1, vcc_lo
	v_lshlrev_b32_e32 v14, 8, v14
	s_delay_alu instid0(VALU_DEP_1) | instskip(NEXT) | instid1(VALU_DEP_1)
	v_ldexp_f64 v[9:10], v[9:10], v14
	v_rsq_f64_e32 v[14:15], v[9:10]
	s_waitcnt_depctr 0xfff
	v_mul_f64 v[16:17], v[9:10], v[14:15]
	v_mul_f64 v[14:15], v[14:15], 0.5
	s_delay_alu instid0(VALU_DEP_1) | instskip(NEXT) | instid1(VALU_DEP_1)
	v_fma_f64 v[18:19], -v[14:15], v[16:17], 0.5
	v_fma_f64 v[16:17], v[16:17], v[18:19], v[16:17]
	v_fma_f64 v[14:15], v[14:15], v[18:19], v[14:15]
	s_delay_alu instid0(VALU_DEP_2) | instskip(NEXT) | instid1(VALU_DEP_1)
	v_fma_f64 v[18:19], -v[16:17], v[16:17], v[9:10]
	v_fma_f64 v[16:17], v[18:19], v[14:15], v[16:17]
	s_delay_alu instid0(VALU_DEP_1) | instskip(NEXT) | instid1(VALU_DEP_1)
	v_fma_f64 v[18:19], -v[16:17], v[16:17], v[9:10]
	v_fma_f64 v[14:15], v[18:19], v[14:15], v[16:17]
	v_cndmask_b32_e64 v16, 0, 0xffffff80, vcc_lo
	v_cmp_class_f64_e64 vcc_lo, v[9:10], 0x260
	v_mul_lo_u32 v17, v5, s5
	s_delay_alu instid0(VALU_DEP_3) | instskip(SKIP_1) | instid1(VALU_DEP_2)
	v_ldexp_f64 v[14:15], v[14:15], v16
	v_mul_lo_u32 v16, v6, s4
	v_dual_cndmask_b32 v10, v15, v10 :: v_dual_cndmask_b32 v9, v14, v9
	s_delay_alu instid0(VALU_DEP_1) | instskip(NEXT) | instid1(VALU_DEP_1)
	v_fma_f64 v[9:10], v[9:10], 0.5, -0.5
	v_floor_f64_e32 v[9:10], v[9:10]
	s_delay_alu instid0(VALU_DEP_1) | instskip(NEXT) | instid1(VALU_DEP_1)
	v_add_f64 v[9:10], v[2:3], -v[9:10]
	v_trunc_f64_e32 v[9:10], v[9:10]
	s_delay_alu instid0(VALU_DEP_1) | instskip(NEXT) | instid1(VALU_DEP_1)
	v_ldexp_f64 v[14:15], v[9:10], 0xffffffe0
	v_floor_f64_e32 v[14:15], v[14:15]
	s_delay_alu instid0(VALU_DEP_1) | instskip(SKIP_1) | instid1(VALU_DEP_2)
	v_fma_f64 v[9:10], 0xc1f00000, v[14:15], v[9:10]
	v_cvt_u32_f64_e32 v15, v[14:15]
	v_cvt_u32_f64_e32 v14, v[9:10]
	v_mad_u64_u32 v[9:10], null, v5, s4, 0
	s_delay_alu instid0(VALU_DEP_3) | instskip(NEXT) | instid1(VALU_DEP_2)
	v_mul_lo_u32 v20, v15, s10
	v_add3_u32 v10, v10, v17, v16
	s_delay_alu instid0(VALU_DEP_1) | instskip(SKIP_4) | instid1(VALU_DEP_4)
	v_lshlrev_b64 v[9:10], 3, v[9:10]
	v_sub_co_u32 v22, vcc_lo, s7, v14
	v_sub_co_ci_u32_e32 v21, vcc_lo, s17, v15, vcc_lo
	v_mul_lo_u32 v23, v14, s11
	v_mad_u64_u32 v[16:17], null, v14, s10, 0
	v_add_co_u32 v24, vcc_lo, v22, -1
	s_delay_alu instid0(VALU_DEP_4) | instskip(SKIP_1) | instid1(VALU_DEP_4)
	v_add_co_ci_u32_e32 v25, vcc_lo, -1, v21, vcc_lo
	v_sub_co_u32 v18, vcc_lo, v7, s12
	v_add3_u32 v17, v17, v23, v20
	s_delay_alu instid0(VALU_DEP_3)
	v_mul_lo_u32 v23, v25, v22
	v_mul_lo_u32 v25, v24, v21
	v_mad_u64_u32 v[20:21], null, v24, v22, 0
	v_subrev_co_ci_u32_e32 v19, vcc_lo, s13, v8, vcc_lo
	v_lshlrev_b64 v[16:17], 3, v[16:17]
	v_add_co_u32 v9, vcc_lo, s14, v9
	v_add_co_ci_u32_e32 v10, vcc_lo, s16, v10, vcc_lo
	s_delay_alu instid0(VALU_DEP_4) | instskip(SKIP_1) | instid1(VALU_DEP_4)
	v_lshlrev_b64 v[18:19], 3, v[18:19]
	v_add3_u32 v21, v21, v25, v23
	v_add_co_u32 v16, vcc_lo, v9, v16
	s_delay_alu instid0(VALU_DEP_4) | instskip(NEXT) | instid1(VALU_DEP_3)
	v_add_co_ci_u32_e32 v17, vcc_lo, v10, v17, vcc_lo
	v_lshlrev_b64 v[9:10], 2, v[20:21]
	v_lshlrev_b64 v[14:15], 3, v[14:15]
	s_delay_alu instid0(VALU_DEP_4) | instskip(NEXT) | instid1(VALU_DEP_4)
	v_add_co_u32 v16, vcc_lo, v16, v18
	v_add_co_ci_u32_e32 v17, vcc_lo, v17, v19, vcc_lo
	s_delay_alu instid0(VALU_DEP_4) | instskip(NEXT) | instid1(VALU_DEP_3)
	v_and_b32_e32 v9, -8, v9
	v_add_co_u32 v14, vcc_lo, v16, v14
	s_delay_alu instid0(VALU_DEP_3) | instskip(NEXT) | instid1(VALU_DEP_2)
	v_add_co_ci_u32_e32 v15, vcc_lo, v17, v15, vcc_lo
	v_add_co_u32 v9, vcc_lo, v14, v9
	s_delay_alu instid0(VALU_DEP_2) | instskip(NEXT) | instid1(VALU_DEP_2)
	v_add_co_ci_u32_e32 v10, vcc_lo, v15, v10, vcc_lo
	v_add_co_u32 v9, vcc_lo, v9, 8
	s_delay_alu instid0(VALU_DEP_2)
	v_add_co_ci_u32_e32 v10, vcc_lo, 0, v10, vcc_lo
	s_branch .LBB20_11
.LBB20_10:                              ;   in Loop: Header=BB20_3 Depth=1
	s_mov_b32 s0, -1
	s_mov_b32 s21, 0
                                        ; implicit-def: $vgpr9_vgpr10
.LBB20_11:                              ;   in Loop: Header=BB20_3 Depth=1
	s_and_b32 vcc_lo, exec_lo, s0
	s_cbranch_vccz .LBB20_14
; %bb.12:                               ;   in Loop: Header=BB20_3 Depth=1
	s_cmpk_eq_i32 s6, 0x79
                                        ; implicit-def: $vgpr9_vgpr10
	s_cbranch_scc0 .LBB20_14
; %bb.13:                               ;   in Loop: Header=BB20_3 Depth=1
	v_lshlrev_b64 v[9:10], 3, v[7:8]
	s_mov_b32 s21, -1
	s_delay_alu instid0(VALU_DEP_1) | instskip(NEXT) | instid1(VALU_DEP_2)
	v_cvt_f64_u32_e32 v[14:15], v10
	v_or_b32_e32 v9, 1, v9
	s_delay_alu instid0(VALU_DEP_1) | instskip(NEXT) | instid1(VALU_DEP_3)
	v_cvt_f64_u32_e32 v[9:10], v9
	v_ldexp_f64 v[14:15], v[14:15], 32
	s_delay_alu instid0(VALU_DEP_1) | instskip(NEXT) | instid1(VALU_DEP_1)
	v_add_f64 v[9:10], v[14:15], v[9:10]
	v_cmp_gt_f64_e32 vcc_lo, 0x10000000, v[9:10]
	v_cndmask_b32_e64 v14, 0, 1, vcc_lo
	s_delay_alu instid0(VALU_DEP_1) | instskip(NEXT) | instid1(VALU_DEP_1)
	v_lshlrev_b32_e32 v14, 8, v14
	v_ldexp_f64 v[9:10], v[9:10], v14
	s_delay_alu instid0(VALU_DEP_1) | instskip(SKIP_3) | instid1(VALU_DEP_1)
	v_rsq_f64_e32 v[14:15], v[9:10]
	s_waitcnt_depctr 0xfff
	v_mul_f64 v[16:17], v[9:10], v[14:15]
	v_mul_f64 v[14:15], v[14:15], 0.5
	v_fma_f64 v[18:19], -v[14:15], v[16:17], 0.5
	s_delay_alu instid0(VALU_DEP_1) | instskip(SKIP_1) | instid1(VALU_DEP_2)
	v_fma_f64 v[16:17], v[16:17], v[18:19], v[16:17]
	v_fma_f64 v[14:15], v[14:15], v[18:19], v[14:15]
	v_fma_f64 v[18:19], -v[16:17], v[16:17], v[9:10]
	s_delay_alu instid0(VALU_DEP_1) | instskip(NEXT) | instid1(VALU_DEP_1)
	v_fma_f64 v[16:17], v[18:19], v[14:15], v[16:17]
	v_fma_f64 v[18:19], -v[16:17], v[16:17], v[9:10]
	s_delay_alu instid0(VALU_DEP_1) | instskip(SKIP_4) | instid1(VALU_DEP_4)
	v_fma_f64 v[14:15], v[18:19], v[14:15], v[16:17]
	v_cndmask_b32_e64 v16, 0, 0xffffff80, vcc_lo
	v_cmp_class_f64_e64 vcc_lo, v[9:10], 0x260
	v_mul_lo_u32 v17, v6, s4
	v_mul_lo_u32 v18, v5, s5
	v_ldexp_f64 v[14:15], v[14:15], v16
	s_delay_alu instid0(VALU_DEP_1) | instskip(NEXT) | instid1(VALU_DEP_1)
	v_dual_cndmask_b32 v10, v15, v10 :: v_dual_cndmask_b32 v9, v14, v9
	v_add_f64 v[9:10], v[9:10], -1.0
	s_delay_alu instid0(VALU_DEP_1) | instskip(NEXT) | instid1(VALU_DEP_1)
	v_mul_f64 v[9:10], v[9:10], 0.5
	v_trunc_f64_e32 v[9:10], v[9:10]
	s_delay_alu instid0(VALU_DEP_1) | instskip(NEXT) | instid1(VALU_DEP_1)
	v_ldexp_f64 v[14:15], v[9:10], 0xffffffe0
	v_floor_f64_e32 v[14:15], v[14:15]
	s_delay_alu instid0(VALU_DEP_1) | instskip(SKIP_1) | instid1(VALU_DEP_2)
	v_fma_f64 v[9:10], 0xc1f00000, v[14:15], v[9:10]
	v_cvt_u32_f64_e32 v15, v[14:15]
	v_cvt_u32_f64_e32 v14, v[9:10]
	v_mad_u64_u32 v[9:10], null, v5, s4, 0
	s_delay_alu instid0(VALU_DEP_3) | instskip(NEXT) | instid1(VALU_DEP_2)
	v_mul_lo_u32 v20, s10, v15
	v_add3_u32 v10, v10, v18, v17
	s_delay_alu instid0(VALU_DEP_1) | instskip(SKIP_4) | instid1(VALU_DEP_3)
	v_lshlrev_b64 v[9:10], 3, v[9:10]
	v_mad_u64_u32 v[5:6], null, v14, v14, v[14:15]
	v_mul_lo_u32 v19, v14, v15
	v_mul_lo_u32 v21, s11, v14
	v_mad_u64_u32 v[15:16], null, s10, v14, s[10:11]
	v_add3_u32 v6, v19, v6, v19
	s_delay_alu instid0(VALU_DEP_2) | instskip(NEXT) | instid1(VALU_DEP_2)
	v_add3_u32 v16, v21, v16, v20
	v_lshrrev_b64 v[5:6], 1, v[5:6]
	s_delay_alu instid0(VALU_DEP_2) | instskip(NEXT) | instid1(VALU_DEP_2)
	v_lshlrev_b64 v[14:15], 3, v[15:16]
	v_sub_co_u32 v5, vcc_lo, v7, v5
	s_delay_alu instid0(VALU_DEP_3) | instskip(SKIP_2) | instid1(VALU_DEP_3)
	v_sub_co_ci_u32_e32 v6, vcc_lo, v8, v6, vcc_lo
	v_add_co_u32 v7, vcc_lo, s14, v9
	v_add_co_ci_u32_e32 v8, vcc_lo, s16, v10, vcc_lo
	v_lshlrev_b64 v[5:6], 3, v[5:6]
	s_delay_alu instid0(VALU_DEP_3) | instskip(NEXT) | instid1(VALU_DEP_3)
	v_add_co_u32 v7, vcc_lo, v7, v14
	v_add_co_ci_u32_e32 v8, vcc_lo, v8, v15, vcc_lo
	s_delay_alu instid0(VALU_DEP_2) | instskip(NEXT) | instid1(VALU_DEP_2)
	v_add_co_u32 v9, vcc_lo, v7, v5
	v_add_co_ci_u32_e32 v10, vcc_lo, v8, v6, vcc_lo
.LBB20_14:                              ;   in Loop: Header=BB20_3 Depth=1
	s_and_b32 vcc_lo, exec_lo, s21
	s_cbranch_vccz .LBB20_2
; %bb.15:                               ;   in Loop: Header=BB20_3 Depth=1
	v_mov_b32_e32 v5, v4
	global_store_b64 v[9:10], v[4:5], off
	s_branch .LBB20_2
.LBB20_16:
	s_nop 0
	s_sendmsg sendmsg(MSG_DEALLOC_VGPRS)
	s_endpgm
	.section	.rodata,"a",@progbits
	.p2align	6, 0x0
	.amdhsa_kernel _ZL18rocblas_trtri_fillILi128EdPKPdEvP15_rocblas_handle13rocblas_fill_ililT1_llii
		.amdhsa_group_segment_fixed_size 0
		.amdhsa_private_segment_fixed_size 0
		.amdhsa_kernarg_size 328
		.amdhsa_user_sgpr_count 14
		.amdhsa_user_sgpr_dispatch_ptr 0
		.amdhsa_user_sgpr_queue_ptr 0
		.amdhsa_user_sgpr_kernarg_segment_ptr 1
		.amdhsa_user_sgpr_dispatch_id 0
		.amdhsa_user_sgpr_private_segment_size 0
		.amdhsa_wavefront_size32 1
		.amdhsa_uses_dynamic_stack 0
		.amdhsa_enable_private_segment 0
		.amdhsa_system_sgpr_workgroup_id_x 1
		.amdhsa_system_sgpr_workgroup_id_y 0
		.amdhsa_system_sgpr_workgroup_id_z 1
		.amdhsa_system_sgpr_workgroup_info 0
		.amdhsa_system_vgpr_workitem_id 0
		.amdhsa_next_free_vgpr 26
		.amdhsa_next_free_sgpr 23
		.amdhsa_reserve_vcc 1
		.amdhsa_float_round_mode_32 0
		.amdhsa_float_round_mode_16_64 0
		.amdhsa_float_denorm_mode_32 3
		.amdhsa_float_denorm_mode_16_64 3
		.amdhsa_dx10_clamp 1
		.amdhsa_ieee_mode 1
		.amdhsa_fp16_overflow 0
		.amdhsa_workgroup_processor_mode 1
		.amdhsa_memory_ordered 1
		.amdhsa_forward_progress 0
		.amdhsa_shared_vgpr_count 0
		.amdhsa_exception_fp_ieee_invalid_op 0
		.amdhsa_exception_fp_denorm_src 0
		.amdhsa_exception_fp_ieee_div_zero 0
		.amdhsa_exception_fp_ieee_overflow 0
		.amdhsa_exception_fp_ieee_underflow 0
		.amdhsa_exception_fp_ieee_inexact 0
		.amdhsa_exception_int_div_zero 0
	.end_amdhsa_kernel
	.section	.text._ZL18rocblas_trtri_fillILi128EdPKPdEvP15_rocblas_handle13rocblas_fill_ililT1_llii,"axG",@progbits,_ZL18rocblas_trtri_fillILi128EdPKPdEvP15_rocblas_handle13rocblas_fill_ililT1_llii,comdat
.Lfunc_end20:
	.size	_ZL18rocblas_trtri_fillILi128EdPKPdEvP15_rocblas_handle13rocblas_fill_ililT1_llii, .Lfunc_end20-_ZL18rocblas_trtri_fillILi128EdPKPdEvP15_rocblas_handle13rocblas_fill_ililT1_llii
                                        ; -- End function
	.section	.AMDGPU.csdata,"",@progbits
; Kernel info:
; codeLenInByte = 2420
; NumSgprs: 25
; NumVgprs: 26
; ScratchSize: 0
; MemoryBound: 0
; FloatMode: 240
; IeeeMode: 1
; LDSByteSize: 0 bytes/workgroup (compile time only)
; SGPRBlocks: 3
; VGPRBlocks: 3
; NumSGPRsForWavesPerEU: 25
; NumVGPRsForWavesPerEU: 26
; Occupancy: 16
; WaveLimiterHint : 0
; COMPUTE_PGM_RSRC2:SCRATCH_EN: 0
; COMPUTE_PGM_RSRC2:USER_SGPR: 14
; COMPUTE_PGM_RSRC2:TRAP_HANDLER: 0
; COMPUTE_PGM_RSRC2:TGID_X_EN: 1
; COMPUTE_PGM_RSRC2:TGID_Y_EN: 0
; COMPUTE_PGM_RSRC2:TGID_Z_EN: 1
; COMPUTE_PGM_RSRC2:TIDIG_COMP_CNT: 0
	.section	.text._ZL26rocblas_trtri_small_kernelILi16EdPKPKdPKPdEv13rocblas_fill_17rocblas_diagonal_iT1_lillT2_lilli,"axG",@progbits,_ZL26rocblas_trtri_small_kernelILi16EdPKPKdPKPdEv13rocblas_fill_17rocblas_diagonal_iT1_lillT2_lilli,comdat
	.globl	_ZL26rocblas_trtri_small_kernelILi16EdPKPKdPKPdEv13rocblas_fill_17rocblas_diagonal_iT1_lillT2_lilli ; -- Begin function _ZL26rocblas_trtri_small_kernelILi16EdPKPKdPKPdEv13rocblas_fill_17rocblas_diagonal_iT1_lillT2_lilli
	.p2align	8
	.type	_ZL26rocblas_trtri_small_kernelILi16EdPKPKdPKPdEv13rocblas_fill_17rocblas_diagonal_iT1_lillT2_lilli,@function
_ZL26rocblas_trtri_small_kernelILi16EdPKPKdPKPdEv13rocblas_fill_17rocblas_diagonal_iT1_lillT2_lilli: ; @_ZL26rocblas_trtri_small_kernelILi16EdPKPKdPKPdEv13rocblas_fill_17rocblas_diagonal_iT1_lillT2_lilli
; %bb.0:
	s_load_b128 s[8:11], s[0:1], 0x0
	s_waitcnt lgkmcnt(0)
	s_cmp_lt_i32 s10, 1
	s_cbranch_scc1 .LBB21_46
; %bb.1:
	s_clause 0x1
	s_load_b128 s[16:19], s[0:1], 0x30
	s_load_b64 s[20:21], s[0:1], 0x40
	s_mov_b32 s2, s15
	s_mov_b32 s3, 0
	s_delay_alu instid0(SALU_CYCLE_1)
	s_lshl_b64 s[22:23], s[2:3], 3
	s_waitcnt lgkmcnt(0)
	s_add_u32 s2, s18, s22
	s_addc_u32 s3, s19, s23
	s_load_b64 s[12:13], s[2:3], 0x0
	v_cmp_le_u32_e64 s3, s10, v0
	v_cmp_gt_u32_e64 s2, s10, v0
	s_delay_alu instid0(VALU_DEP_1)
	s_and_saveexec_b32 s11, s2
	s_cbranch_execz .LBB21_14
; %bb.2:
	s_clause 0x1
	s_load_b128 s[4:7], s[0:1], 0x10
	s_load_b32 s18, s[0:1], 0x20
	s_waitcnt lgkmcnt(0)
	s_add_u32 s4, s4, s22
	s_addc_u32 s5, s5, s23
	s_load_b64 s[22:23], s[4:5], 0x0
	s_mul_i32 s4, s14, s17
	s_mul_hi_u32 s5, s14, s16
	s_mul_i32 s16, s14, s16
	s_add_i32 s17, s5, s4
	s_cmpk_lg_i32 s8, 0x7a
	s_mov_b32 s4, -1
	s_cbranch_scc0 .LBB21_6
; %bb.3:
	s_ashr_i32 s19, s18, 31
	s_lshl_b32 s5, s10, 3
	s_ashr_i32 s4, s10, 31
	s_add_u32 s15, s10, -1
	s_addc_u32 s4, s4, -1
	s_mul_i32 s24, s15, s19
	s_mul_hi_u32 s25, s15, s18
	s_mul_i32 s4, s4, s18
	s_add_i32 s24, s25, s24
	s_lshl_b64 s[26:27], s[16:17], 3
	s_add_i32 s25, s24, s4
	s_mul_i32 s24, s15, s18
	v_lshlrev_b32_e32 v1, 3, v0
	s_lshl_b64 s[24:25], s[24:25], 3
	s_delay_alu instid0(SALU_CYCLE_1)
	s_add_u32 s4, s24, s26
	s_addc_u32 s15, s25, s27
	s_lshl_b64 s[24:25], s[6:7], 3
	v_sub_nc_u32_e32 v2, s5, v1
	s_add_u32 s4, s4, s24
	s_addc_u32 s15, s15, s25
	s_waitcnt lgkmcnt(0)
	s_add_u32 s4, s22, s4
	s_addc_u32 s15, s23, s15
	v_add_co_u32 v1, s4, s4, v1
	v_add_nc_u32_e32 v3, -8, v2
	s_lshl_b64 s[24:25], s[18:19], 3
	v_add_co_ci_u32_e64 v2, null, s15, 0, s4
	s_sub_u32 s15, 0, s24
	s_subb_u32 s24, 0, s25
	s_mov_b32 s19, 0
	s_mov_b32 s25, s10
.LBB21_4:                               ; =>This Inner Loop Header: Depth=1
	global_load_b64 v[4:5], v[1:2], off
	s_add_i32 s25, s25, -1
	v_add_co_u32 v1, vcc_lo, v1, s15
	v_cmp_le_i32_e64 s4, s25, v0
	v_add_co_ci_u32_e32 v2, vcc_lo, s24, v2, vcc_lo
	s_delay_alu instid0(VALU_DEP_2)
	s_or_b32 s19, s4, s19
	s_waitcnt vmcnt(0)
	ds_store_b64 v3, v[4:5]
	v_add_nc_u32_e32 v3, s5, v3
	s_and_not1_b32 exec_lo, exec_lo, s19
	s_cbranch_execnz .LBB21_4
; %bb.5:
	s_or_b32 exec_lo, exec_lo, s19
	s_mov_b32 s4, 0
.LBB21_6:
	s_delay_alu instid0(SALU_CYCLE_1)
	s_and_b32 vcc_lo, exec_lo, s4
	s_cbranch_vccz .LBB21_14
; %bb.7:
	v_dual_mov_b32 v3, 0 :: v_dual_add_nc_u32 v4, 1, v0
	s_ashr_i32 s19, s18, 31
	s_mov_b32 s5, exec_lo
	v_cmpx_lt_u32_e32 2, v0
	s_cbranch_execz .LBB21_11
; %bb.8:
	s_lshl_b64 s[24:25], s[6:7], 3
	v_lshlrev_b32_e32 v5, 3, v0
	s_waitcnt lgkmcnt(0)
	s_add_u32 s4, s22, s24
	s_addc_u32 s15, s23, s25
	s_lshl_b64 s[24:25], s[16:17], 3
	v_and_b32_e32 v3, 28, v4
	s_add_u32 s4, s4, s24
	s_addc_u32 s15, s15, s25
	v_add_co_u32 v1, s4, s4, v5
	s_delay_alu instid0(VALU_DEP_1)
	v_add_co_ci_u32_e64 v2, null, s15, 0, s4
	s_mul_hi_i32 s15, s18, 24
	s_mul_i32 s30, s18, 24
	s_lshl_b64 s[24:25], s[18:19], 5
	s_lshl_b64 s[26:27], s[18:19], 4
	;; [unrolled: 1-line block ×3, first 2 shown]
	s_lshl_b32 s31, s10, 3
	s_lshl_b32 s33, s10, 5
	;; [unrolled: 1-line block ×3, first 2 shown]
	s_mul_i32 s36, s10, 24
	s_mov_b32 s35, 0
	s_mov_b32 s37, 0
	s_set_inst_prefetch_distance 0x1
	.p2align	6
.LBB21_9:                               ; =>This Inner Loop Header: Depth=1
	v_add_co_u32 v6, vcc_lo, v1, s28
	v_add_co_ci_u32_e32 v7, vcc_lo, s29, v2, vcc_lo
	v_add_co_u32 v8, vcc_lo, v1, s26
	v_add_co_ci_u32_e32 v9, vcc_lo, s27, v2, vcc_lo
	;; [unrolled: 2-line block ×3, first 2 shown]
	s_clause 0x3
	global_load_b64 v[12:13], v[1:2], off
	global_load_b64 v[6:7], v[6:7], off
	;; [unrolled: 1-line block ×4, first 2 shown]
	s_add_i32 s37, s37, 4
	v_add_co_u32 v1, s4, v1, s24
	v_cmp_eq_u32_e32 vcc_lo, s37, v3
	v_add_nc_u32_e32 v14, s31, v5
	v_add_nc_u32_e32 v15, s34, v5
	;; [unrolled: 1-line block ×3, first 2 shown]
	v_add_co_ci_u32_e64 v2, s4, s25, v2, s4
	s_or_b32 s35, vcc_lo, s35
	s_waitcnt vmcnt(3)
	ds_store_b64 v5, v[12:13]
	v_add_nc_u32_e32 v5, s33, v5
	s_waitcnt vmcnt(2)
	ds_store_b64 v14, v[6:7]
	s_waitcnt vmcnt(1)
	ds_store_b64 v15, v[8:9]
	;; [unrolled: 2-line block ×3, first 2 shown]
	s_and_not1_b32 exec_lo, exec_lo, s35
	s_cbranch_execnz .LBB21_9
; %bb.10:
	s_set_inst_prefetch_distance 0x2
	s_or_b32 exec_lo, exec_lo, s35
.LBB21_11:
	s_delay_alu instid0(SALU_CYCLE_1) | instskip(SKIP_2) | instid1(VALU_DEP_1)
	s_or_b32 exec_lo, exec_lo, s5
	v_and_b32_e32 v4, 3, v4
	s_mov_b32 s5, 0
	v_cmp_ne_u32_e32 vcc_lo, 0, v4
	s_and_b32 exec_lo, exec_lo, vcc_lo
	s_cbranch_execz .LBB21_14
; %bb.12:
	v_mad_i64_i32 v[1:2], null, s18, v3, 0
	s_lshl_b64 s[16:17], s[16:17], 3
	s_lshl_b64 s[6:7], s[6:7], 3
	s_lshl_b32 s15, s10, 3
	s_add_u32 s4, s6, s16
	v_lshlrev_b32_e32 v5, 3, v0
	s_addc_u32 s6, s7, s17
	s_delay_alu instid0(VALU_DEP_2) | instskip(SKIP_1) | instid1(VALU_DEP_2)
	v_lshlrev_b64 v[1:2], 3, v[1:2]
	v_mul_lo_u32 v3, v3, s10
	v_add_co_u32 v1, vcc_lo, s4, v1
	s_delay_alu instid0(VALU_DEP_3) | instskip(NEXT) | instid1(VALU_DEP_3)
	v_add_co_ci_u32_e32 v2, vcc_lo, s6, v2, vcc_lo
	v_add_lshl_u32 v3, v0, v3, 3
	s_delay_alu instid0(VALU_DEP_3) | instskip(NEXT) | instid1(VALU_DEP_3)
	v_add_co_u32 v1, vcc_lo, v1, v5
	v_add_co_ci_u32_e32 v2, vcc_lo, 0, v2, vcc_lo
	s_lshl_b64 s[6:7], s[18:19], 3
	s_waitcnt lgkmcnt(0)
	s_delay_alu instid0(VALU_DEP_2) | instskip(NEXT) | instid1(VALU_DEP_2)
	v_add_co_u32 v1, vcc_lo, s22, v1
	v_add_co_ci_u32_e32 v2, vcc_lo, s23, v2, vcc_lo
.LBB21_13:                              ; =>This Inner Loop Header: Depth=1
	global_load_b64 v[5:6], v[1:2], off
	v_add_nc_u32_e32 v4, -1, v4
	v_add_co_u32 v1, vcc_lo, v1, s6
	v_add_co_ci_u32_e32 v2, vcc_lo, s7, v2, vcc_lo
	s_delay_alu instid0(VALU_DEP_3) | instskip(NEXT) | instid1(VALU_DEP_1)
	v_cmp_eq_u32_e64 s4, 0, v4
	s_or_b32 s5, s4, s5
	s_waitcnt vmcnt(0)
	ds_store_b64 v3, v[5:6]
	v_add_nc_u32_e32 v3, s15, v3
	s_and_not1_b32 exec_lo, exec_lo, s5
	s_cbranch_execnz .LBB21_13
.LBB21_14:
	s_or_b32 exec_lo, exec_lo, s11
	s_waitcnt vmcnt(0) lgkmcnt(0)
	s_waitcnt_vscnt null, 0x0
	; wave barrier
	s_waitcnt lgkmcnt(0)
	buffer_gl0_inv
                                        ; implicit-def: $vgpr1
	s_and_saveexec_b32 s4, s3
	s_delay_alu instid0(SALU_CYCLE_1)
	s_xor_b32 s3, exec_lo, s4
; %bb.15:
	v_mad_u64_u32 v[1:2], null, v0, s10, v[0:1]
; %bb.16:
	s_and_not1_saveexec_b32 s3, s3
	s_cbranch_execz .LBB21_22
; %bb.17:
	s_delay_alu instid0(VALU_DEP_1) | instskip(SKIP_3) | instid1(VALU_DEP_3)
	v_mad_u64_u32 v[1:2], null, v0, s10, v[0:1]
	v_mov_b32_e32 v2, 0
	v_mov_b32_e32 v3, 0x3ff00000
	s_cmpk_eq_i32 s9, 0x84
	v_lshlrev_b32_e32 v6, 3, v1
	s_cbranch_scc1 .LBB21_21
; %bb.18:
	ds_load_b64 v[4:5], v6
	v_mov_b32_e32 v2, 0
	v_mov_b32_e32 v3, 0x3ff00000
	s_mov_b32 s4, exec_lo
	s_waitcnt lgkmcnt(0)
	v_cmpx_neq_f64_e32 0, v[4:5]
; %bb.19:
	v_div_scale_f64 v[2:3], null, v[4:5], v[4:5], 1.0
	s_delay_alu instid0(VALU_DEP_1) | instskip(SKIP_2) | instid1(VALU_DEP_1)
	v_rcp_f64_e32 v[7:8], v[2:3]
	s_waitcnt_depctr 0xfff
	v_fma_f64 v[9:10], -v[2:3], v[7:8], 1.0
	v_fma_f64 v[7:8], v[7:8], v[9:10], v[7:8]
	s_delay_alu instid0(VALU_DEP_1) | instskip(NEXT) | instid1(VALU_DEP_1)
	v_fma_f64 v[9:10], -v[2:3], v[7:8], 1.0
	v_fma_f64 v[7:8], v[7:8], v[9:10], v[7:8]
	v_div_scale_f64 v[9:10], vcc_lo, 1.0, v[4:5], 1.0
	s_delay_alu instid0(VALU_DEP_1) | instskip(NEXT) | instid1(VALU_DEP_1)
	v_mul_f64 v[11:12], v[9:10], v[7:8]
	v_fma_f64 v[2:3], -v[2:3], v[11:12], v[9:10]
	s_delay_alu instid0(VALU_DEP_1) | instskip(NEXT) | instid1(VALU_DEP_1)
	v_div_fmas_f64 v[2:3], v[2:3], v[7:8], v[11:12]
	v_div_fixup_f64 v[2:3], v[2:3], v[4:5], 1.0
; %bb.20:
	s_or_b32 exec_lo, exec_lo, s4
.LBB21_21:
	ds_store_b64 v6, v[2:3]
.LBB21_22:
	s_or_b32 exec_lo, exec_lo, s3
	s_delay_alu instid0(VALU_DEP_1)
	v_lshlrev_b32_e32 v3, 3, v1
	v_add_lshl_u32 v4, v0, s10, 3
	s_lshl_b32 s11, s10, 3
	s_mov_b32 s3, 8
	s_add_i32 s4, s11, 8
	s_mov_b32 s5, 0
	s_waitcnt vmcnt(0) lgkmcnt(0)
	s_waitcnt_vscnt null, 0x0
	; wave barrier
	s_waitcnt lgkmcnt(0)
	buffer_gl0_inv
	s_branch .LBB21_24
.LBB21_23:                              ;   in Loop: Header=BB21_24 Depth=1
	s_set_inst_prefetch_distance 0x2
	v_add_nc_u32_e32 v4, s11, v4
	s_add_i32 s3, s3, s4
	s_cmp_eq_u32 s5, s10
	s_waitcnt vmcnt(0) lgkmcnt(0)
	s_waitcnt_vscnt null, 0x0
	; wave barrier
	buffer_gl0_inv
	s_cbranch_scc1 .LBB21_33
.LBB21_24:                              ; =>This Loop Header: Depth=1
                                        ;     Child Loop BB21_29 Depth 2
	s_mul_i32 s7, s5, s10
	v_mov_b32_e32 v1, 0
	v_mov_b32_e32 v2, 0
	v_add_lshl_u32 v5, s7, v0, 3
	s_mov_b32 s6, exec_lo
	v_cmpx_lt_u32_e64 s5, v0
	s_cbranch_execz .LBB21_26
; %bb.25:                               ;   in Loop: Header=BB21_24 Depth=1
	s_add_i32 s7, s7, s5
	s_delay_alu instid0(SALU_CYCLE_1) | instskip(NEXT) | instid1(SALU_CYCLE_1)
	s_lshl_b32 s7, s7, 3
	v_mov_b32_e32 v6, s7
	ds_load_b64 v[1:2], v5
	ds_load_b64 v[6:7], v6
	s_waitcnt lgkmcnt(0)
	v_fma_f64 v[1:2], v[1:2], v[6:7], 0
.LBB21_26:                              ;   in Loop: Header=BB21_24 Depth=1
	s_or_b32 exec_lo, exec_lo, s6
	s_add_i32 s5, s5, 1
	s_delay_alu instid0(SALU_CYCLE_1)
	s_cmp_ge_i32 s5, s10
	; wave barrier
	buffer_gl0_inv
	s_cbranch_scc1 .LBB21_23
; %bb.27:                               ;   in Loop: Header=BB21_24 Depth=1
	v_mov_b32_e32 v6, v4
	s_mov_b32 s6, s3
	s_mov_b32 s7, s5
	s_set_inst_prefetch_distance 0x1
	s_branch .LBB21_29
	.p2align	6
.LBB21_28:                              ;   in Loop: Header=BB21_29 Depth=2
	s_or_b32 exec_lo, exec_lo, s9
	v_add_nc_u32_e32 v6, s11, v6
	s_add_i32 s7, s7, 1
	s_add_i32 s6, s6, 8
	s_cmp_ge_i32 s7, s10
	s_waitcnt vmcnt(0) lgkmcnt(0)
	s_waitcnt_vscnt null, 0x0
	; wave barrier
	buffer_gl0_inv
	s_cbranch_scc1 .LBB21_23
.LBB21_29:                              ;   Parent Loop BB21_24 Depth=1
                                        ; =>  This Inner Loop Header: Depth=2
	s_mov_b32 s9, exec_lo
	v_cmpx_eq_u32_e64 s7, v0
	s_cbranch_execz .LBB21_31
; %bb.30:                               ;   in Loop: Header=BB21_29 Depth=2
	v_add_f64 v[7:8], -v[1:2], 0
	ds_load_b64 v[9:10], v3
	s_waitcnt lgkmcnt(0)
	v_mul_f64 v[7:8], v[7:8], v[9:10]
	ds_store_b64 v5, v[7:8]
.LBB21_31:                              ;   in Loop: Header=BB21_29 Depth=2
	s_or_b32 exec_lo, exec_lo, s9
	s_delay_alu instid0(SALU_CYCLE_1)
	s_mov_b32 s9, exec_lo
	s_waitcnt vmcnt(0) lgkmcnt(0)
	s_waitcnt_vscnt null, 0x0
	; wave barrier
	s_waitcnt lgkmcnt(0)
	buffer_gl0_inv
	v_cmpx_lt_u32_e64 s7, v0
	s_cbranch_execz .LBB21_28
; %bb.32:                               ;   in Loop: Header=BB21_29 Depth=2
	v_mov_b32_e32 v9, s6
	ds_load_b64 v[7:8], v6
	ds_load_b64 v[9:10], v9
	s_waitcnt lgkmcnt(0)
	v_fma_f64 v[1:2], v[7:8], v[9:10], v[1:2]
	s_branch .LBB21_28
.LBB21_33:
	s_and_saveexec_b32 s3, s2
	s_cbranch_execz .LBB21_46
; %bb.34:
	s_clause 0x1
	s_load_b64 s[4:5], s[0:1], 0x58
	s_load_b32 s2, s[0:1], 0x48
	v_lshlrev_b32_e32 v3, 3, v0
	s_waitcnt lgkmcnt(0)
	s_mul_i32 s0, s14, s5
	s_mul_hi_u32 s1, s14, s4
	s_mul_i32 s4, s14, s4
	s_add_i32 s5, s1, s0
	s_cmpk_lg_i32 s8, 0x7a
	s_mov_b32 s0, -1
	s_cbranch_scc0 .LBB21_38
; %bb.35:
	s_add_i32 s0, s10, -1
	s_ashr_i32 s3, s2, 31
	s_mul_hi_u32 s6, s2, s0
	s_mul_i32 s1, s3, s0
	s_mul_i32 s0, s2, s0
	s_add_i32 s1, s6, s1
	s_lshl_b64 s[6:7], s[4:5], 3
	s_lshl_b64 s[0:1], s[0:1], 3
	v_lshlrev_b32_e32 v1, 3, v0
	s_add_u32 s6, s6, s0
	s_addc_u32 s7, s7, s1
	s_lshl_b64 s[0:1], s[20:21], 3
	s_delay_alu instid0(SALU_CYCLE_1)
	s_add_u32 s0, s6, s0
	s_addc_u32 s1, s7, s1
	v_sub_nc_u32_e32 v4, s11, v1
	s_add_u32 s0, s12, s0
	s_addc_u32 s1, s13, s1
	v_add_co_u32 v1, s0, s0, v1
	s_lshl_b64 s[6:7], s[2:3], 3
	v_add_co_ci_u32_e64 v2, null, s1, 0, s0
	v_add_nc_u32_e32 v4, -8, v4
	s_sub_u32 s1, 0, s6
	s_subb_u32 s6, 0, s7
	s_mov_b32 s3, 0
	s_mov_b32 s7, s10
.LBB21_36:                              ; =>This Inner Loop Header: Depth=1
	ds_load_b64 v[5:6], v4
	s_add_i32 s7, s7, -1
	v_add_nc_u32_e32 v4, s11, v4
	v_cmp_le_i32_e32 vcc_lo, s7, v0
	s_or_b32 s3, vcc_lo, s3
	s_waitcnt lgkmcnt(0)
	global_store_b64 v[1:2], v[5:6], off
	v_add_co_u32 v1, s0, v1, s1
	s_delay_alu instid0(VALU_DEP_1)
	v_add_co_ci_u32_e64 v2, s0, s6, v2, s0
	s_and_not1_b32 exec_lo, exec_lo, s3
	s_cbranch_execnz .LBB21_36
; %bb.37:
	s_or_b32 exec_lo, exec_lo, s3
	s_mov_b32 s0, 0
.LBB21_38:
	s_delay_alu instid0(SALU_CYCLE_1)
	s_and_b32 vcc_lo, exec_lo, s0
	s_cbranch_vccz .LBB21_46
; %bb.39:
	v_dual_mov_b32 v4, 0 :: v_dual_add_nc_u32 v5, 1, v0
	s_ashr_i32 s3, s2, 31
	s_mov_b32 s1, exec_lo
	v_cmpx_lt_u32_e32 2, v0
	s_cbranch_execz .LBB21_43
; %bb.40:
	s_lshl_b64 s[6:7], s[20:21], 3
	v_and_b32_e32 v4, 28, v5
	s_add_u32 s0, s12, s6
	s_addc_u32 s8, s13, s7
	s_lshl_b64 s[6:7], s[4:5], 3
	v_mov_b32_e32 v6, v3
	s_add_u32 s0, s0, s6
	s_addc_u32 s6, s8, s7
	v_add_co_u32 v1, s0, s0, v3
	s_delay_alu instid0(VALU_DEP_1)
	v_add_co_ci_u32_e64 v2, null, s6, 0, s0
	s_mul_hi_i32 s16, s2, 24
	s_mul_i32 s17, s2, 24
	s_lshl_b64 s[6:7], s[2:3], 5
	s_lshl_b64 s[8:9], s[2:3], 4
	;; [unrolled: 1-line block ×3, first 2 shown]
	s_lshl_b32 s18, s10, 5
	s_lshl_b32 s19, s10, 4
	s_mul_i32 s23, s10, 24
	s_mov_b32 s22, 0
	s_mov_b32 s24, 0
	s_set_inst_prefetch_distance 0x1
	.p2align	6
.LBB21_41:                              ; =>This Inner Loop Header: Depth=1
	ds_load_b64 v[7:8], v6
	v_add_nc_u32_e32 v11, s11, v6
	v_add_nc_u32_e32 v13, s19, v6
	;; [unrolled: 1-line block ×3, first 2 shown]
	v_add_co_u32 v9, vcc_lo, v1, s14
	ds_load_b64 v[11:12], v11
	ds_load_b64 v[13:14], v13
	;; [unrolled: 1-line block ×3, first 2 shown]
	v_add_co_ci_u32_e32 v10, vcc_lo, s15, v2, vcc_lo
	v_add_co_u32 v17, vcc_lo, v1, s8
	v_add_co_ci_u32_e32 v18, vcc_lo, s9, v2, vcc_lo
	v_add_co_u32 v19, vcc_lo, v1, s17
	s_add_i32 s24, s24, 4
	v_add_co_ci_u32_e32 v20, vcc_lo, s16, v2, vcc_lo
	v_cmp_eq_u32_e32 vcc_lo, s24, v4
	v_add_nc_u32_e32 v6, s18, v6
	s_waitcnt lgkmcnt(3)
	global_store_b64 v[1:2], v[7:8], off
	v_add_co_u32 v1, s0, v1, s6
	s_delay_alu instid0(VALU_DEP_1)
	v_add_co_ci_u32_e64 v2, s0, s7, v2, s0
	s_or_b32 s22, vcc_lo, s22
	s_waitcnt lgkmcnt(2)
	global_store_b64 v[9:10], v[11:12], off
	s_waitcnt lgkmcnt(1)
	global_store_b64 v[17:18], v[13:14], off
	;; [unrolled: 2-line block ×3, first 2 shown]
	s_and_not1_b32 exec_lo, exec_lo, s22
	s_cbranch_execnz .LBB21_41
; %bb.42:
	s_set_inst_prefetch_distance 0x2
	s_or_b32 exec_lo, exec_lo, s22
.LBB21_43:
	s_delay_alu instid0(SALU_CYCLE_1) | instskip(SKIP_2) | instid1(VALU_DEP_1)
	s_or_b32 exec_lo, exec_lo, s1
	v_and_b32_e32 v5, 3, v5
	s_mov_b32 s1, 0
	v_cmp_ne_u32_e32 vcc_lo, 0, v5
	s_and_b32 exec_lo, exec_lo, vcc_lo
	s_cbranch_execz .LBB21_46
; %bb.44:
	v_mad_i64_i32 v[1:2], null, s2, v4, 0
	s_lshl_b64 s[4:5], s[4:5], 3
	s_lshl_b64 s[6:7], s[20:21], 3
	v_mul_lo_u32 v4, v4, s10
	s_add_u32 s0, s6, s4
	s_addc_u32 s4, s7, s5
	s_lshl_b64 s[2:3], s[2:3], 3
	s_delay_alu instid0(VALU_DEP_2) | instskip(NEXT) | instid1(VALU_DEP_2)
	v_lshlrev_b64 v[1:2], 3, v[1:2]
	v_add_lshl_u32 v0, v0, v4, 3
	s_delay_alu instid0(VALU_DEP_2) | instskip(NEXT) | instid1(VALU_DEP_3)
	v_add_co_u32 v1, vcc_lo, s0, v1
	v_add_co_ci_u32_e32 v2, vcc_lo, s4, v2, vcc_lo
	s_delay_alu instid0(VALU_DEP_2) | instskip(NEXT) | instid1(VALU_DEP_2)
	v_add_co_u32 v1, vcc_lo, v1, v3
	v_add_co_ci_u32_e32 v2, vcc_lo, 0, v2, vcc_lo
	s_delay_alu instid0(VALU_DEP_2) | instskip(NEXT) | instid1(VALU_DEP_2)
	v_add_co_u32 v1, vcc_lo, s12, v1
	v_add_co_ci_u32_e32 v2, vcc_lo, s13, v2, vcc_lo
.LBB21_45:                              ; =>This Inner Loop Header: Depth=1
	ds_load_b64 v[3:4], v0
	v_add_nc_u32_e32 v5, -1, v5
	v_add_nc_u32_e32 v0, s11, v0
	s_delay_alu instid0(VALU_DEP_2) | instskip(SKIP_4) | instid1(VALU_DEP_1)
	v_cmp_eq_u32_e32 vcc_lo, 0, v5
	s_or_b32 s1, vcc_lo, s1
	s_waitcnt lgkmcnt(0)
	global_store_b64 v[1:2], v[3:4], off
	v_add_co_u32 v1, s0, v1, s2
	v_add_co_ci_u32_e64 v2, s0, s3, v2, s0
	s_and_not1_b32 exec_lo, exec_lo, s1
	s_cbranch_execnz .LBB21_45
.LBB21_46:
	s_nop 0
	s_sendmsg sendmsg(MSG_DEALLOC_VGPRS)
	s_endpgm
	.section	.rodata,"a",@progbits
	.p2align	6, 0x0
	.amdhsa_kernel _ZL26rocblas_trtri_small_kernelILi16EdPKPKdPKPdEv13rocblas_fill_17rocblas_diagonal_iT1_lillT2_lilli
		.amdhsa_group_segment_fixed_size 2048
		.amdhsa_private_segment_fixed_size 0
		.amdhsa_kernarg_size 100
		.amdhsa_user_sgpr_count 14
		.amdhsa_user_sgpr_dispatch_ptr 0
		.amdhsa_user_sgpr_queue_ptr 0
		.amdhsa_user_sgpr_kernarg_segment_ptr 1
		.amdhsa_user_sgpr_dispatch_id 0
		.amdhsa_user_sgpr_private_segment_size 0
		.amdhsa_wavefront_size32 1
		.amdhsa_uses_dynamic_stack 0
		.amdhsa_enable_private_segment 0
		.amdhsa_system_sgpr_workgroup_id_x 1
		.amdhsa_system_sgpr_workgroup_id_y 0
		.amdhsa_system_sgpr_workgroup_id_z 1
		.amdhsa_system_sgpr_workgroup_info 0
		.amdhsa_system_vgpr_workitem_id 0
		.amdhsa_next_free_vgpr 21
		.amdhsa_next_free_sgpr 38
		.amdhsa_reserve_vcc 1
		.amdhsa_float_round_mode_32 0
		.amdhsa_float_round_mode_16_64 0
		.amdhsa_float_denorm_mode_32 3
		.amdhsa_float_denorm_mode_16_64 3
		.amdhsa_dx10_clamp 1
		.amdhsa_ieee_mode 1
		.amdhsa_fp16_overflow 0
		.amdhsa_workgroup_processor_mode 1
		.amdhsa_memory_ordered 1
		.amdhsa_forward_progress 0
		.amdhsa_shared_vgpr_count 0
		.amdhsa_exception_fp_ieee_invalid_op 0
		.amdhsa_exception_fp_denorm_src 0
		.amdhsa_exception_fp_ieee_div_zero 0
		.amdhsa_exception_fp_ieee_overflow 0
		.amdhsa_exception_fp_ieee_underflow 0
		.amdhsa_exception_fp_ieee_inexact 0
		.amdhsa_exception_int_div_zero 0
	.end_amdhsa_kernel
	.section	.text._ZL26rocblas_trtri_small_kernelILi16EdPKPKdPKPdEv13rocblas_fill_17rocblas_diagonal_iT1_lillT2_lilli,"axG",@progbits,_ZL26rocblas_trtri_small_kernelILi16EdPKPKdPKPdEv13rocblas_fill_17rocblas_diagonal_iT1_lillT2_lilli,comdat
.Lfunc_end21:
	.size	_ZL26rocblas_trtri_small_kernelILi16EdPKPKdPKPdEv13rocblas_fill_17rocblas_diagonal_iT1_lillT2_lilli, .Lfunc_end21-_ZL26rocblas_trtri_small_kernelILi16EdPKPKdPKPdEv13rocblas_fill_17rocblas_diagonal_iT1_lillT2_lilli
                                        ; -- End function
	.section	.AMDGPU.csdata,"",@progbits
; Kernel info:
; codeLenInByte = 2308
; NumSgprs: 40
; NumVgprs: 21
; ScratchSize: 0
; MemoryBound: 0
; FloatMode: 240
; IeeeMode: 1
; LDSByteSize: 2048 bytes/workgroup (compile time only)
; SGPRBlocks: 4
; VGPRBlocks: 2
; NumSGPRsForWavesPerEU: 40
; NumVGPRsForWavesPerEU: 21
; Occupancy: 16
; WaveLimiterHint : 0
; COMPUTE_PGM_RSRC2:SCRATCH_EN: 0
; COMPUTE_PGM_RSRC2:USER_SGPR: 14
; COMPUTE_PGM_RSRC2:TRAP_HANDLER: 0
; COMPUTE_PGM_RSRC2:TGID_X_EN: 1
; COMPUTE_PGM_RSRC2:TGID_Y_EN: 0
; COMPUTE_PGM_RSRC2:TGID_Z_EN: 1
; COMPUTE_PGM_RSRC2:TIDIG_COMP_CNT: 0
	.section	.text._ZL29rocblas_trtri_diagonal_kernelILi16EdPKPKdPKPdEv13rocblas_fill_17rocblas_diagonal_iT1_lillT2_lilli,"axG",@progbits,_ZL29rocblas_trtri_diagonal_kernelILi16EdPKPKdPKPdEv13rocblas_fill_17rocblas_diagonal_iT1_lillT2_lilli,comdat
	.globl	_ZL29rocblas_trtri_diagonal_kernelILi16EdPKPKdPKPdEv13rocblas_fill_17rocblas_diagonal_iT1_lillT2_lilli ; -- Begin function _ZL29rocblas_trtri_diagonal_kernelILi16EdPKPKdPKPdEv13rocblas_fill_17rocblas_diagonal_iT1_lillT2_lilli
	.p2align	8
	.type	_ZL29rocblas_trtri_diagonal_kernelILi16EdPKPKdPKPdEv13rocblas_fill_17rocblas_diagonal_iT1_lillT2_lilli,@function
_ZL29rocblas_trtri_diagonal_kernelILi16EdPKPKdPKPdEv13rocblas_fill_17rocblas_diagonal_iT1_lillT2_lilli: ; @_ZL29rocblas_trtri_diagonal_kernelILi16EdPKPKdPKPdEv13rocblas_fill_17rocblas_diagonal_iT1_lillT2_lilli
; %bb.0:
	s_load_b128 s[8:11], s[0:1], 0x0
	s_waitcnt lgkmcnt(0)
	s_ashr_i32 s3, s10, 31
	s_delay_alu instid0(SALU_CYCLE_1) | instskip(NEXT) | instid1(SALU_CYCLE_1)
	s_lshr_b32 s3, s3, 27
	s_add_i32 s3, s10, s3
	s_delay_alu instid0(SALU_CYCLE_1) | instskip(NEXT) | instid1(SALU_CYCLE_1)
	s_ashr_i32 s3, s3, 5
	v_cvt_f32_u32_e32 v1, s3
	s_sub_i32 s5, 0, s3
	s_delay_alu instid0(VALU_DEP_1) | instskip(SKIP_2) | instid1(VALU_DEP_1)
	v_rcp_iflag_f32_e32 v1, v1
	s_waitcnt_depctr 0xfff
	v_mul_f32_e32 v1, 0x4f7ffffe, v1
	v_cvt_u32_f32_e32 v1, v1
	s_delay_alu instid0(VALU_DEP_1) | instskip(NEXT) | instid1(VALU_DEP_1)
	v_readfirstlane_b32 s4, v1
	s_mul_i32 s5, s5, s4
	s_delay_alu instid0(SALU_CYCLE_1) | instskip(NEXT) | instid1(SALU_CYCLE_1)
	s_mul_hi_u32 s5, s4, s5
	s_add_i32 s4, s4, s5
	s_delay_alu instid0(SALU_CYCLE_1) | instskip(NEXT) | instid1(SALU_CYCLE_1)
	s_mul_hi_u32 s4, s14, s4
	s_mul_i32 s5, s4, s3
	s_add_i32 s6, s4, 1
	s_sub_i32 s5, s14, s5
	s_delay_alu instid0(SALU_CYCLE_1)
	s_sub_i32 s7, s5, s3
	s_cmp_ge_u32 s5, s3
	s_cselect_b32 s4, s6, s4
	s_cselect_b32 s5, s7, s5
	s_add_i32 s6, s4, 1
	s_cmp_ge_u32 s5, s3
	s_cselect_b32 s24, s6, s4
	s_delay_alu instid0(SALU_CYCLE_1) | instskip(NEXT) | instid1(SALU_CYCLE_1)
	s_mul_i32 s3, s24, s3
	s_sub_i32 s25, s14, s3
	s_mov_b32 s3, 0
	s_lshl_b32 s11, s25, 4
	s_delay_alu instid0(SALU_CYCLE_1)
	s_cmp_eq_u32 s10, s11
	s_cbranch_scc1 .LBB22_101
; %bb.1:
	s_mov_b32 s2, s15
	s_clause 0x1
	s_load_b128 s[4:7], s[0:1], 0x10
	s_load_b128 s[12:15], s[0:1], 0x30
	s_lshl_b64 s[2:3], s[2:3], 3
	s_load_b64 s[16:17], s[0:1], 0x40
	v_mov_b32_e32 v1, v0
	s_waitcnt lgkmcnt(0)
	s_add_u32 s4, s4, s2
	s_addc_u32 s5, s5, s3
	s_add_u32 s2, s14, s2
	s_addc_u32 s3, s15, s3
	s_load_b64 s[18:19], s[4:5], 0x0
	s_load_b64 s[14:15], s[2:3], 0x0
	s_sub_i32 s23, s10, s11
	s_delay_alu instid0(SALU_CYCLE_1) | instskip(NEXT) | instid1(SALU_CYCLE_1)
	s_min_u32 s22, s23, 16
	s_lshl_b32 s10, s22, 1
	v_cmp_gt_u32_e64 s4, s22, v0
	v_cmp_le_u32_e64 s2, s22, v0
	v_cmp_gt_u32_e64 s3, s10, v0
	v_cmp_le_u32_e32 vcc_lo, s10, v0
	s_delay_alu instid0(VALU_DEP_3)
	s_and_saveexec_b32 s5, s2
	s_cbranch_execz .LBB22_7
; %bb.2:
                                        ; implicit-def: $vgpr1
	s_and_saveexec_b32 s11, vcc_lo
	s_delay_alu instid0(SALU_CYCLE_1)
	s_xor_b32 s11, exec_lo, s11
; %bb.3:
	v_subrev_nc_u32_e32 v1, s10, v0
; %bb.4:
	s_and_not1_saveexec_b32 s10, s11
; %bb.5:
	v_subrev_nc_u32_e32 v1, s22, v0
; %bb.6:
	s_or_b32 exec_lo, exec_lo, s10
.LBB22_7:
	s_delay_alu instid0(SALU_CYCLE_1) | instskip(SKIP_4) | instid1(VALU_DEP_1)
	s_or_b32 exec_lo, exec_lo, s5
	s_load_b32 s10, s[0:1], 0x20
	v_cndmask_b32_e64 v2, 0, 0x1800, s3
	s_mul_i32 s5, s24, s13
	s_mul_hi_u32 s13, s24, s12
	v_cndmask_b32_e64 v9, v2, 0x1000, s4
	s_waitcnt lgkmcnt(0)
	s_ashr_i32 s11, s10, 31
	s_delay_alu instid0(SALU_CYCLE_1) | instskip(NEXT) | instid1(SALU_CYCLE_1)
	s_lshl_b64 s[20:21], s[10:11], 5
	s_add_u32 s4, s20, 32
	s_addc_u32 s20, s21, 0
	s_add_i32 s5, s13, s5
	s_mul_hi_u32 s13, s4, s25
	s_mul_i32 s21, s20, s25
	s_mul_i32 s20, s4, s25
	s_add_i32 s21, s13, s21
	s_mul_i32 s4, s24, s12
	s_and_saveexec_b32 s12, vcc_lo
	s_delay_alu instid0(SALU_CYCLE_1)
	s_xor_b32 s26, exec_lo, s12
	s_cbranch_execz .LBB22_17
; %bb.8:
	s_mul_i32 s12, s22, 3
	s_mov_b32 s27, exec_lo
	v_cmpx_gt_u32_e64 s12, v0
	s_cbranch_execz .LBB22_16
; %bb.9:
	s_cmpk_eq_i32 s8, 0x7a
	s_mov_b32 s12, -1
	s_cbranch_scc1 .LBB22_13
; %bb.10:
	s_add_i32 s28, s22, -1
	s_lshl_b32 s36, s22, 3
	s_mul_i32 s13, s22, s28
	s_lshl_b64 s[30:31], s[4:5], 3
	s_lshl_b64 s[34:35], s[20:21], 3
	s_add_i32 s12, s22, 1
	s_lshl_b32 s33, s13, 3
	s_mov_b32 s29, 0
	s_sub_i32 s13, 0, s36
	v_lshlrev_b32_e32 v3, 3, v1
	s_add_u32 s30, s30, s34
	s_addc_u32 s31, s31, s35
	s_lshl_b64 s[28:29], s[28:29], 3
	v_ashrrev_i32_e32 v2, 31, v1
	s_add_u32 s28, s36, s28
	v_add3_u32 v4, s33, v3, v9
	s_mul_i32 s33, s28, s11
	s_mul_hi_u32 s34, s28, s10
	s_addc_u32 s29, 0, s29
	s_add_i32 s33, s34, s33
	s_mul_i32 s29, s29, s10
	s_mul_i32 s28, s28, s10
	s_add_i32 s33, s33, s29
	s_add_u32 s30, s30, s28
	s_addc_u32 s31, s31, s33
	s_lshl_b64 s[28:29], s[6:7], 3
	v_lshlrev_b64 v[2:3], 3, v[1:2]
	s_add_u32 s28, s30, s28
	s_addc_u32 s29, s31, s29
	s_add_u32 s28, s18, s28
	s_addc_u32 s29, s19, s29
	s_delay_alu instid0(VALU_DEP_1) | instskip(SKIP_2) | instid1(SALU_CYCLE_1)
	v_add_co_u32 v2, vcc_lo, s28, v2
	v_add_co_ci_u32_e32 v3, vcc_lo, s29, v3, vcc_lo
	s_lshl_b64 s[28:29], s[10:11], 3
	s_sub_u32 s28, 0, s28
	s_subb_u32 s29, 0, s29
.LBB22_11:                              ; =>This Inner Loop Header: Depth=1
	global_load_b64 v[5:6], v[2:3], off
	v_add_co_u32 v2, vcc_lo, v2, s28
	v_add_co_ci_u32_e32 v3, vcc_lo, s29, v3, vcc_lo
	s_add_i32 s12, s12, -1
	s_delay_alu instid0(SALU_CYCLE_1)
	s_cmp_gt_u32 s12, 1
	s_waitcnt vmcnt(0)
	ds_store_b64 v4, v[5:6]
	v_add_nc_u32_e32 v4, s13, v4
	s_cbranch_scc1 .LBB22_11
; %bb.12:
	s_mov_b32 s12, 0
.LBB22_13:
	s_delay_alu instid0(SALU_CYCLE_1)
	s_and_b32 vcc_lo, exec_lo, s12
	s_cbranch_vccz .LBB22_16
; %bb.14:
	v_add_nc_u32_e32 v2, s22, v1
	s_lshl_b64 s[12:13], s[6:7], 3
	v_lshl_add_u32 v4, v1, 3, v9
	s_add_u32 s28, s18, s12
	s_addc_u32 s29, s19, s13
	v_ashrrev_i32_e32 v3, 31, v2
	s_lshl_b64 s[12:13], s[20:21], 3
	s_delay_alu instid0(SALU_CYCLE_1) | instskip(SKIP_1) | instid1(VALU_DEP_1)
	s_add_u32 s28, s28, s12
	s_addc_u32 s29, s29, s13
	v_lshlrev_b64 v[2:3], 3, v[2:3]
	s_lshl_b64 s[12:13], s[4:5], 3
	s_delay_alu instid0(SALU_CYCLE_1) | instskip(SKIP_2) | instid1(VALU_DEP_1)
	s_add_u32 s12, s28, s12
	s_addc_u32 s13, s29, s13
	s_lshl_b32 s28, s22, 3
	v_add_co_u32 v2, vcc_lo, s12, v2
	v_add_co_ci_u32_e32 v3, vcc_lo, s13, v3, vcc_lo
	s_lshl_b64 s[12:13], s[10:11], 3
	s_mov_b32 s29, s22
.LBB22_15:                              ; =>This Inner Loop Header: Depth=1
	global_load_b64 v[5:6], v[2:3], off
	v_add_co_u32 v2, vcc_lo, v2, s12
	v_add_co_ci_u32_e32 v3, vcc_lo, s13, v3, vcc_lo
	s_add_i32 s29, s29, -1
	s_delay_alu instid0(SALU_CYCLE_1)
	s_cmp_eq_u32 s29, 0
	s_waitcnt vmcnt(0)
	ds_store_b64 v4, v[5:6]
	v_add_nc_u32_e32 v4, s28, v4
	s_cbranch_scc0 .LBB22_15
.LBB22_16:
	s_or_b32 exec_lo, exec_lo, s27
.LBB22_17:
	s_and_not1_saveexec_b32 s12, s26
	s_cbranch_execz .LBB22_31
; %bb.18:
	v_mov_b32_e32 v2, 0
	v_mov_b32_e32 v3, 0
	s_and_saveexec_b32 s13, s2
; %bb.19:
	s_add_u32 s26, s10, 1
	s_addc_u32 s27, s11, 0
	s_mul_hi_u32 s28, s26, s22
	s_mul_i32 s27, s27, s22
	s_mul_i32 s26, s26, s22
	s_add_i32 s27, s28, s27
	s_delay_alu instid0(SALU_CYCLE_1)
	v_dual_mov_b32 v2, s26 :: v_dual_mov_b32 v3, s27
; %bb.20:
	s_or_b32 exec_lo, exec_lo, s13
	s_delay_alu instid0(VALU_DEP_1)
	v_lshlrev_b64 v[3:4], 3, v[2:3]
	s_cmpk_lg_i32 s8, 0x7a
	s_mov_b32 s13, -1
	s_cbranch_scc0 .LBB22_26
; %bb.21:
	s_add_i32 s13, s22, -1
	s_lshl_b64 s[28:29], s[4:5], 3
	s_lshl_b64 s[30:31], s[20:21], 3
	s_lshl_b32 s26, s22, 3
	s_add_u32 s27, s28, s30
	s_mul_i32 s28, s11, s13
	s_mul_hi_u32 s30, s10, s13
	s_addc_u32 s31, s29, s31
	s_add_i32 s29, s30, s28
	s_mul_i32 s28, s10, s13
	v_ashrrev_i32_e32 v2, 31, v1
	s_lshl_b64 s[28:29], s[28:29], 3
	v_sub_nc_u32_e32 v8, s13, v1
	s_add_u32 s27, s27, s28
	s_addc_u32 s30, s31, s29
	s_lshl_b64 s[28:29], s[6:7], 3
	v_lshlrev_b64 v[5:6], 3, v[1:2]
	s_add_u32 s27, s28, s27
	s_addc_u32 s28, s29, s30
	v_add_co_u32 v2, vcc_lo, s27, v3
	v_add_co_ci_u32_e32 v7, vcc_lo, s28, v4, vcc_lo
	s_lshl_b64 s[28:29], s[10:11], 3
	s_delay_alu instid0(VALU_DEP_2) | instskip(NEXT) | instid1(VALU_DEP_2)
	v_add_co_u32 v5, vcc_lo, v2, v5
	v_add_co_ci_u32_e32 v6, vcc_lo, v7, v6, vcc_lo
	v_lshl_add_u32 v2, v8, 3, v9
	s_delay_alu instid0(VALU_DEP_3) | instskip(NEXT) | instid1(VALU_DEP_3)
	v_add_co_u32 v5, vcc_lo, s18, v5
	v_add_co_ci_u32_e32 v6, vcc_lo, s19, v6, vcc_lo
	s_sub_u32 s27, 0, s28
	s_subb_u32 s28, 0, s29
	s_branch .LBB22_23
	.p2align	6
.LBB22_22:                              ;   in Loop: Header=BB22_23 Depth=1
	s_or_b32 exec_lo, exec_lo, s29
	v_add_co_u32 v5, vcc_lo, v5, s27
	s_waitcnt vmcnt(0)
	ds_store_b64 v2, v[7:8]
	v_add_nc_u32_e32 v2, s26, v2
	v_add_co_ci_u32_e32 v6, vcc_lo, s28, v6, vcc_lo
	s_add_i32 s13, s13, -1
	s_delay_alu instid0(SALU_CYCLE_1)
	s_cmp_eq_u32 s13, -1
	s_cbranch_scc1 .LBB22_25
.LBB22_23:                              ; =>This Inner Loop Header: Depth=1
	v_mov_b32_e32 v7, 0
	v_mov_b32_e32 v8, 0
	s_mov_b32 s29, exec_lo
	v_cmpx_ge_i32_e64 s13, v1
	s_cbranch_execz .LBB22_22
; %bb.24:                               ;   in Loop: Header=BB22_23 Depth=1
	global_load_b64 v[7:8], v[5:6], off
	s_branch .LBB22_22
.LBB22_25:
	s_mov_b32 s13, 0
.LBB22_26:
	s_delay_alu instid0(SALU_CYCLE_1)
	s_and_b32 vcc_lo, exec_lo, s13
	s_cbranch_vccz .LBB22_31
; %bb.27:
	s_lshl_b64 s[4:5], s[4:5], 3
	s_lshl_b64 s[20:21], s[20:21], 3
	v_ashrrev_i32_e32 v2, 31, v1
	s_lshl_b32 s13, s22, 3
	s_add_u32 s20, s4, s20
	s_addc_u32 s21, s5, s21
	s_lshl_b64 s[4:5], s[6:7], 3
	v_lshlrev_b64 v[5:6], 3, v[1:2]
	s_add_u32 s4, s4, s20
	s_addc_u32 s5, s5, s21
	v_add_co_u32 v2, vcc_lo, s4, v3
	v_add_co_ci_u32_e32 v3, vcc_lo, s5, v4, vcc_lo
	s_lshl_b64 s[4:5], s[10:11], 3
	s_delay_alu instid0(VALU_DEP_2) | instskip(NEXT) | instid1(VALU_DEP_2)
	v_add_co_u32 v2, vcc_lo, v2, v5
	v_add_co_ci_u32_e32 v3, vcc_lo, v3, v6, vcc_lo
	v_lshl_add_u32 v6, v1, 3, v9
	s_delay_alu instid0(VALU_DEP_3) | instskip(NEXT) | instid1(VALU_DEP_3)
	v_add_co_u32 v2, vcc_lo, s18, v2
	v_add_co_ci_u32_e32 v3, vcc_lo, s19, v3, vcc_lo
	s_mov_b32 s6, 0
	s_branch .LBB22_29
	.p2align	6
.LBB22_28:                              ;   in Loop: Header=BB22_29 Depth=1
	s_or_b32 exec_lo, exec_lo, s7
	v_add_co_u32 v2, vcc_lo, v2, s4
	s_waitcnt vmcnt(0)
	ds_store_b64 v6, v[4:5]
	v_add_nc_u32_e32 v6, s13, v6
	v_add_co_ci_u32_e32 v3, vcc_lo, s5, v3, vcc_lo
	s_add_i32 s6, s6, 1
	s_delay_alu instid0(SALU_CYCLE_1)
	s_cmp_eq_u32 s22, s6
	s_cbranch_scc1 .LBB22_31
.LBB22_29:                              ; =>This Inner Loop Header: Depth=1
	v_mov_b32_e32 v4, 0
	v_mov_b32_e32 v5, 0
	s_mov_b32 s7, exec_lo
	v_cmpx_le_i32_e64 s6, v1
	s_cbranch_execz .LBB22_28
; %bb.30:                               ;   in Loop: Header=BB22_29 Depth=1
	global_load_b64 v[4:5], v[2:3], off
	s_branch .LBB22_28
.LBB22_31:
	s_or_b32 exec_lo, exec_lo, s12
	s_waitcnt lgkmcnt(0)
	s_barrier
	buffer_gl0_inv
	s_and_saveexec_b32 s4, s3
	s_cbranch_execz .LBB22_37
; %bb.32:
	s_add_i32 s5, s22, 1
	v_mov_b32_e32 v2, 0
	v_mul_i32_i24_e32 v4, s5, v1
	v_mov_b32_e32 v3, 0x3ff00000
	s_cmpk_eq_i32 s9, 0x84
	s_delay_alu instid0(VALU_DEP_2)
	v_lshl_add_u32 v6, v4, 3, v9
	s_cbranch_scc1 .LBB22_36
; %bb.33:
	ds_load_b64 v[4:5], v6
	v_mov_b32_e32 v2, 0
	v_mov_b32_e32 v3, 0x3ff00000
	s_mov_b32 s5, exec_lo
	s_waitcnt lgkmcnt(0)
	v_cmpx_neq_f64_e32 0, v[4:5]
; %bb.34:
	v_div_scale_f64 v[2:3], null, v[4:5], v[4:5], 1.0
	s_delay_alu instid0(VALU_DEP_1) | instskip(SKIP_2) | instid1(VALU_DEP_1)
	v_rcp_f64_e32 v[7:8], v[2:3]
	s_waitcnt_depctr 0xfff
	v_fma_f64 v[10:11], -v[2:3], v[7:8], 1.0
	v_fma_f64 v[7:8], v[7:8], v[10:11], v[7:8]
	s_delay_alu instid0(VALU_DEP_1) | instskip(NEXT) | instid1(VALU_DEP_1)
	v_fma_f64 v[10:11], -v[2:3], v[7:8], 1.0
	v_fma_f64 v[7:8], v[7:8], v[10:11], v[7:8]
	v_div_scale_f64 v[10:11], vcc_lo, 1.0, v[4:5], 1.0
	s_delay_alu instid0(VALU_DEP_1) | instskip(NEXT) | instid1(VALU_DEP_1)
	v_mul_f64 v[12:13], v[10:11], v[7:8]
	v_fma_f64 v[2:3], -v[2:3], v[12:13], v[10:11]
	s_delay_alu instid0(VALU_DEP_1) | instskip(NEXT) | instid1(VALU_DEP_1)
	v_div_fmas_f64 v[2:3], v[2:3], v[7:8], v[12:13]
	v_div_fixup_f64 v[2:3], v[2:3], v[4:5], 1.0
; %bb.35:
	s_or_b32 exec_lo, exec_lo, s5
.LBB22_36:
	ds_store_b64 v6, v[2:3]
.LBB22_37:
	s_or_b32 exec_lo, exec_lo, s4
	s_waitcnt lgkmcnt(0)
	s_barrier
	buffer_gl0_inv
	s_and_saveexec_b32 s4, s3
	s_cbranch_execz .LBB22_49
; %bb.38:
	s_add_i32 s5, s22, 1
	v_lshlrev_b32_e32 v2, 3, v1
	v_mul_i32_i24_e32 v3, s5, v1
	s_lshl_b32 s5, s22, 3
	v_add_nc_u32_e32 v4, 8, v9
	s_add_i32 s6, s5, 8
	v_add_nc_u32_e32 v5, v9, v2
	v_lshl_add_u32 v6, v3, 3, v9
	v_add3_u32 v7, v2, s5, v9
	s_mov_b32 s7, 0
	s_branch .LBB22_40
.LBB22_39:                              ;   in Loop: Header=BB22_40 Depth=1
	s_set_inst_prefetch_distance 0x2
	v_add_nc_u32_e32 v4, s6, v4
	v_add_nc_u32_e32 v7, s5, v7
	s_cmp_eq_u32 s7, s22
	s_cbranch_scc1 .LBB22_49
.LBB22_40:                              ; =>This Loop Header: Depth=1
                                        ;     Child Loop BB22_45 Depth 2
	v_mov_b32_e32 v2, 0
	v_mov_b32_e32 v3, 0
	s_mul_i32 s9, s7, s22
	s_mov_b32 s10, exec_lo
	v_cmpx_lt_i32_e64 s7, v1
	s_cbranch_execz .LBB22_42
; %bb.41:                               ;   in Loop: Header=BB22_40 Depth=1
	s_lshl_b32 s11, s9, 3
	s_lshl_b32 s12, s7, 3
	v_add_nc_u32_e32 v2, s11, v5
	v_add3_u32 v8, s11, s12, v9
	ds_load_b64 v[2:3], v2
	ds_load_b64 v[10:11], v8
	s_waitcnt lgkmcnt(0)
	v_fma_f64 v[2:3], v[2:3], v[10:11], 0
.LBB22_42:                              ;   in Loop: Header=BB22_40 Depth=1
	s_or_b32 exec_lo, exec_lo, s10
	s_add_i32 s7, s7, 1
	s_delay_alu instid0(SALU_CYCLE_1)
	s_cmp_ge_u32 s7, s22
	s_cbranch_scc1 .LBB22_39
; %bb.43:                               ;   in Loop: Header=BB22_40 Depth=1
	v_lshl_add_u32 v8, s9, 3, v5
	v_dual_mov_b32 v10, v7 :: v_dual_mov_b32 v11, v4
	s_mov_b32 s9, s7
	s_set_inst_prefetch_distance 0x1
	s_branch .LBB22_45
	.p2align	6
.LBB22_44:                              ;   in Loop: Header=BB22_45 Depth=2
	s_or_b32 exec_lo, exec_lo, s10
	v_add_nc_u32_e32 v11, 8, v11
	v_add_nc_u32_e32 v10, s5, v10
	s_add_i32 s9, s9, 1
	s_delay_alu instid0(SALU_CYCLE_1)
	s_cmp_ge_u32 s9, s22
	s_cbranch_scc1 .LBB22_39
.LBB22_45:                              ;   Parent Loop BB22_40 Depth=1
                                        ; =>  This Inner Loop Header: Depth=2
	s_mov_b32 s10, exec_lo
	v_cmpx_eq_u32_e64 s9, v1
	s_cbranch_execz .LBB22_47
; %bb.46:                               ;   in Loop: Header=BB22_45 Depth=2
	s_delay_alu instid0(VALU_DEP_4)
	v_add_f64 v[12:13], -v[2:3], 0
	ds_load_b64 v[14:15], v6
	s_waitcnt lgkmcnt(0)
	v_mul_f64 v[12:13], v[12:13], v[14:15]
	ds_store_b64 v8, v[12:13]
.LBB22_47:                              ;   in Loop: Header=BB22_45 Depth=2
	s_or_b32 exec_lo, exec_lo, s10
	s_delay_alu instid0(SALU_CYCLE_1)
	s_mov_b32 s10, exec_lo
	v_cmpx_lt_i32_e64 s9, v1
	s_cbranch_execz .LBB22_44
; %bb.48:                               ;   in Loop: Header=BB22_45 Depth=2
	ds_load_b64 v[12:13], v10
	ds_load_b64 v[14:15], v11
	s_waitcnt lgkmcnt(0)
	v_fma_f64 v[2:3], v[12:13], v[14:15], v[2:3]
	s_branch .LBB22_44
.LBB22_49:
	s_or_b32 exec_lo, exec_lo, s4
	s_and_b32 s4, s22, 0xffff
	v_cvt_f32_ubyte0_e32 v4, v0
	v_cvt_f32_u32_e32 v2, s4
	s_mul_i32 s4, s22, s22
	s_cmpk_lg_i32 s8, 0x7a
	v_cmp_gt_u32_e64 s4, s4, v0
	s_cselect_b32 s5, -1, 0
	v_rcp_iflag_f32_e32 v3, v2
	s_mov_b32 s9, 0
	s_waitcnt lgkmcnt(0)
	s_barrier
	buffer_gl0_inv
	v_mul_f32_e32 v3, v4, v3
	s_delay_alu instid0(VALU_DEP_1) | instskip(NEXT) | instid1(VALU_DEP_1)
	v_trunc_f32_e32 v3, v3
	v_fma_f32 v4, -v3, v2, v4
	v_cvt_u32_f32_e32 v3, v3
	s_delay_alu instid0(VALU_DEP_2) | instskip(NEXT) | instid1(VALU_DEP_2)
	v_cmp_ge_f32_e64 vcc_lo, |v4|, v2
	v_add_co_ci_u32_e32 v2, vcc_lo, 0, v3, vcc_lo
	s_and_b32 vcc_lo, exec_lo, s5
	s_delay_alu instid0(VALU_DEP_1) | instskip(SKIP_1) | instid1(VALU_DEP_2)
	v_mul_lo_u16 v3, v2, s22
	v_and_b32_e32 v11, 0xffff, v2
	v_sub_nc_u16 v3, v0, v3
	s_delay_alu instid0(VALU_DEP_1)
	v_and_b32_e32 v10, 0xffff, v3
	s_cbranch_vccz .LBB22_61
; %bb.50:
	s_mov_b32 s6, 0
                                        ; implicit-def: $vgpr2_vgpr3
                                        ; implicit-def: $vgpr0
	s_and_saveexec_b32 s7, s4
	s_cbranch_execz .LBB22_60
; %bb.51:
	v_dual_mov_b32 v2, 0 :: v_dual_add_nc_u32 v5, 1, v11
	v_dual_mov_b32 v3, 0 :: v_dual_mov_b32 v0, 0
	v_lshlrev_b32_e32 v4, 7, v11
	s_mov_b32 s8, exec_lo
	v_cmpx_lt_u16_e32 6, v11
	s_cbranch_execz .LBB22_55
; %bb.52:
	v_mov_b32_e32 v2, 0
	v_dual_mov_b32 v3, 0 :: v_dual_and_b32 v0, 0x7f8, v5
	v_lshlrev_b32_e32 v6, 3, v10
	v_sub_nc_u32_e32 v7, 0x1fc0, v4
	s_mov_b32 s10, 0
	s_set_inst_prefetch_distance 0x1
	.p2align	6
.LBB22_53:                              ; =>This Inner Loop Header: Depth=1
	ds_load_2addr_b64 v[12:15], v6 offset1:16
	ds_load_b128 v[16:19], v7 offset:48
	ds_load_b128 v[20:23], v7 offset:32
	s_add_i32 s10, s10, 8
	s_delay_alu instid0(SALU_CYCLE_1) | instskip(SKIP_3) | instid1(VALU_DEP_1)
	v_cmp_eq_u32_e32 vcc_lo, s10, v0
	s_or_b32 s9, vcc_lo, s9
	s_waitcnt lgkmcnt(1)
	v_fma_f64 v[2:3], v[12:13], v[18:19], v[2:3]
	v_fma_f64 v[2:3], v[14:15], v[16:17], v[2:3]
	ds_load_2addr_b64 v[12:15], v6 offset0:32 offset1:48
	s_waitcnt lgkmcnt(0)
	v_fma_f64 v[2:3], v[12:13], v[22:23], v[2:3]
	s_delay_alu instid0(VALU_DEP_1)
	v_fma_f64 v[2:3], v[14:15], v[20:21], v[2:3]
	ds_load_b128 v[12:15], v7 offset:16
	ds_load_2addr_b64 v[16:19], v6 offset0:64 offset1:80
	ds_load_b128 v[20:23], v7
	v_subrev_nc_u32_e32 v7, 64, v7
	s_waitcnt lgkmcnt(1)
	v_fma_f64 v[2:3], v[16:17], v[14:15], v[2:3]
	s_delay_alu instid0(VALU_DEP_1) | instskip(SKIP_4) | instid1(VALU_DEP_1)
	v_fma_f64 v[2:3], v[18:19], v[12:13], v[2:3]
	ds_load_2addr_b64 v[12:15], v6 offset0:96 offset1:112
	v_add_nc_u32_e32 v6, 0x400, v6
	s_waitcnt lgkmcnt(0)
	v_fma_f64 v[2:3], v[12:13], v[22:23], v[2:3]
	v_fma_f64 v[2:3], v[14:15], v[20:21], v[2:3]
	s_and_not1_b32 exec_lo, exec_lo, s9
	s_cbranch_execnz .LBB22_53
; %bb.54:
	s_set_inst_prefetch_distance 0x2
	s_or_b32 exec_lo, exec_lo, s9
.LBB22_55:
	s_delay_alu instid0(SALU_CYCLE_1) | instskip(SKIP_3) | instid1(VALU_DEP_1)
	s_or_b32 exec_lo, exec_lo, s8
	v_and_b32_e32 v5, 7, v5
	s_mov_b32 s9, 0
	s_mov_b32 s8, exec_lo
	v_cmpx_ne_u32_e32 0, v5
	s_cbranch_execz .LBB22_59
; %bb.56:
	v_lshl_add_u32 v4, v0, 3, v4
	v_lshlrev_b32_e32 v6, 3, v10
	s_delay_alu instid0(VALU_DEP_2) | instskip(NEXT) | instid1(VALU_DEP_2)
	v_sub_nc_u32_e32 v4, 0x1ff8, v4
	v_lshl_add_u32 v0, v0, 7, v6
.LBB22_57:                              ; =>This Inner Loop Header: Depth=1
	ds_load_b64 v[6:7], v0
	ds_load_b64 v[12:13], v4
	v_add_nc_u32_e32 v5, -1, v5
	v_add_nc_u32_e32 v4, -8, v4
	v_add_nc_u32_e32 v0, 0x80, v0
	s_delay_alu instid0(VALU_DEP_3)
	v_cmp_eq_u32_e32 vcc_lo, 0, v5
	s_or_b32 s9, vcc_lo, s9
	s_waitcnt lgkmcnt(0)
	v_fma_f64 v[2:3], v[6:7], v[12:13], v[2:3]
	s_and_not1_b32 exec_lo, exec_lo, s9
	s_cbranch_execnz .LBB22_57
; %bb.58:
	s_or_b32 exec_lo, exec_lo, s9
.LBB22_59:
	s_delay_alu instid0(SALU_CYCLE_1) | instskip(NEXT) | instid1(SALU_CYCLE_1)
	s_or_b32 exec_lo, exec_lo, s8
	s_mov_b32 s9, exec_lo
	v_lshlrev_b32_e32 v0, 4, v11
.LBB22_60:
	s_or_b32 exec_lo, exec_lo, s7
	s_delay_alu instid0(SALU_CYCLE_1)
	s_and_b32 vcc_lo, exec_lo, s6
	s_cbranch_vccnz .LBB22_62
	s_branch .LBB22_69
.LBB22_61:
                                        ; implicit-def: $vgpr2_vgpr3
                                        ; implicit-def: $vgpr0
	s_cbranch_execz .LBB22_69
.LBB22_62:
                                        ; implicit-def: $vgpr2_vgpr3
                                        ; implicit-def: $vgpr0
	s_and_saveexec_b32 s6, s4
	s_cbranch_execz .LBB22_68
; %bb.63:
	v_mov_b32_e32 v2, 0
	v_mov_b32_e32 v3, 0
	s_mov_b32 s7, exec_lo
	v_cmpx_gt_u16_e32 16, v11
	s_cbranch_execz .LBB22_67
; %bb.64:
	v_lshlrev_b32_e32 v4, 3, v10
	s_movk_i32 s8, 0x88
	v_mov_b32_e32 v2, 0
	v_dual_mov_b32 v3, 0 :: v_dual_add_nc_u32 v0, -1, v11
	s_delay_alu instid0(VALU_DEP_3)
	v_lshl_add_u32 v4, v11, 7, v4
	v_mad_u32_u24 v5, v11, s8, 0x1000
	s_mov_b32 s8, 0
.LBB22_65:                              ; =>This Inner Loop Header: Depth=1
	ds_load_b64 v[6:7], v4
	ds_load_b64 v[12:13], v5
	v_add_nc_u32_e32 v0, 1, v0
	v_add_nc_u32_e32 v4, 0x80, v4
	;; [unrolled: 1-line block ×3, first 2 shown]
	s_delay_alu instid0(VALU_DEP_3)
	v_cmp_lt_u32_e32 vcc_lo, 14, v0
	s_or_b32 s8, vcc_lo, s8
	s_waitcnt lgkmcnt(0)
	v_fma_f64 v[2:3], v[6:7], v[12:13], v[2:3]
	s_and_not1_b32 exec_lo, exec_lo, s8
	s_cbranch_execnz .LBB22_65
; %bb.66:
	s_or_b32 exec_lo, exec_lo, s8
.LBB22_67:
	s_delay_alu instid0(SALU_CYCLE_1)
	s_or_b32 exec_lo, exec_lo, s7
	v_lshlrev_b32_e32 v0, 4, v11
	s_or_b32 s9, s9, exec_lo
.LBB22_68:
	s_or_b32 exec_lo, exec_lo, s6
.LBB22_69:
	s_and_saveexec_b32 s6, s9
	s_cbranch_execz .LBB22_71
; %bb.70:
	v_add_lshl_u32 v0, v0, v10, 3
	ds_store_b64 v0, v[2:3] offset:2048
.LBB22_71:
	s_or_b32 exec_lo, exec_lo, s6
	s_clause 0x1
	s_load_b32 s6, s[0:1], 0x48
	s_load_b64 s[10:11], s[0:1], 0x58
	s_lshl_b64 s[0:1], s[16:17], 3
	s_waitcnt lgkmcnt(0)
	s_barrier
	buffer_gl0_inv
	s_ashr_i32 s7, s6, 31
	s_add_u32 s12, s14, s0
	s_addc_u32 s13, s15, s1
	s_lshl_b64 s[8:9], s[6:7], 5
	s_mul_i32 s11, s24, s11
	s_add_u32 s8, s8, 32
	s_addc_u32 s9, s9, 0
	s_mul_hi_u32 s16, s8, s25
	s_mul_i32 s9, s9, s25
	s_mul_i32 s8, s8, s25
	s_add_i32 s9, s16, s9
	s_mul_hi_u32 s16, s24, s10
	s_lshl_b64 s[8:9], s[8:9], 3
	s_mul_i32 s10, s24, s10
	s_add_u32 s12, s12, s8
	s_addc_u32 s13, s13, s9
	s_add_i32 s11, s16, s11
	s_mov_b32 s16, -1
	s_lshl_b64 s[10:11], s[10:11], 3
	s_delay_alu instid0(SALU_CYCLE_1)
	s_add_u32 s12, s12, s10
	s_addc_u32 s13, s13, s11
	s_and_b32 vcc_lo, exec_lo, s5
	s_cbranch_vccnz .LBB22_74
; %bb.72:
	s_and_not1_b32 vcc_lo, exec_lo, s16
	s_cbranch_vccz .LBB22_79
.LBB22_73:
	s_and_saveexec_b32 s4, s3
	s_cbranch_execnz .LBB22_90
	s_branch .LBB22_101
.LBB22_74:
	s_and_saveexec_b32 s16, s4
	s_cbranch_execz .LBB22_78
; %bb.75:
	v_sub_nc_u32_e32 v0, s22, v10
	v_mad_u32_u24 v3, s22, v11, v10
	v_add_nc_u32_e32 v4, -1, v10
	s_lshl_b32 s18, s22, 3
	s_mov_b32 s17, 0
	v_mul_i32_i24_e32 v0, s22, v0
	v_lshl_add_u32 v5, v3, 3, 0x800
	s_sub_i32 s18, 0, s18
	s_delay_alu instid0(VALU_DEP_2) | instskip(SKIP_1) | instid1(VALU_DEP_1)
	v_lshlrev_b32_e32 v2, 3, v0
	v_lshlrev_b32_e32 v0, 3, v10
	v_sub_nc_u32_e32 v6, v2, v0
	v_mov_b32_e32 v2, 0
	s_delay_alu instid0(VALU_DEP_2)
	v_dual_mov_b32 v3, 0 :: v_dual_add_nc_u32 v6, 0xff8, v6
.LBB22_76:                              ; =>This Inner Loop Header: Depth=1
	ds_load_b64 v[7:8], v6
	ds_load_b64 v[12:13], v5
	v_add_nc_u32_e32 v4, 1, v4
	v_add_nc_u32_e32 v5, 8, v5
	;; [unrolled: 1-line block ×3, first 2 shown]
	s_delay_alu instid0(VALU_DEP_3)
	v_cmp_lt_u32_e32 vcc_lo, 14, v4
	s_or_b32 s17, vcc_lo, s17
	s_waitcnt lgkmcnt(0)
	v_fma_f64 v[2:3], -v[7:8], v[12:13], v[2:3]
	s_and_not1_b32 exec_lo, exec_lo, s17
	s_cbranch_execnz .LBB22_76
; %bb.77:
	s_or_b32 exec_lo, exec_lo, s17
	v_mad_i64_i32 v[4:5], null, v11, s6, 0
	s_mul_hi_i32 s19, s22, s6
	s_mul_i32 s18, s22, s6
	s_delay_alu instid0(SALU_CYCLE_1) | instskip(NEXT) | instid1(SALU_CYCLE_1)
	s_lshl_b64 s[18:19], s[18:19], 3
	s_add_u32 s17, s12, s18
	s_delay_alu instid0(VALU_DEP_1) | instskip(SKIP_2) | instid1(VALU_DEP_1)
	v_lshlrev_b64 v[4:5], 3, v[4:5]
	s_addc_u32 s18, s13, s19
	v_add_co_u32 v0, s17, s17, v0
	v_add_co_ci_u32_e64 v6, null, s18, 0, s17
	s_delay_alu instid0(VALU_DEP_2) | instskip(NEXT) | instid1(VALU_DEP_2)
	v_add_co_u32 v4, vcc_lo, v0, v4
	v_add_co_ci_u32_e32 v5, vcc_lo, v6, v5, vcc_lo
	global_store_b64 v[4:5], v[2:3], off
.LBB22_78:
	s_or_b32 exec_lo, exec_lo, s16
	s_cbranch_execnz .LBB22_73
.LBB22_79:
	s_and_saveexec_b32 s16, s4
	s_cbranch_execz .LBB22_89
; %bb.80:
	v_dual_mov_b32 v2, 0 :: v_dual_mov_b32 v13, 0
	v_mul_u32_u24_e32 v12, s22, v11
	v_dual_mov_b32 v3, 0 :: v_dual_add_nc_u32 v14, 1, v10
	s_mov_b32 s4, exec_lo
	v_cmpx_lt_u16_e32 6, v10
	s_cbranch_execz .LBB22_84
; %bb.81:
	v_lshl_add_u32 v0, v10, 3, 0x1800
	v_dual_mov_b32 v2, 0 :: v_dual_and_b32 v13, 56, v14
	v_lshl_add_u32 v15, v12, 3, 0x800
	v_mov_b32_e32 v3, 0
	s_delay_alu instid0(VALU_DEP_4)
	v_mad_u64_u32 v[4:5], null, s22, 24, v[0:1]
	v_mad_u64_u32 v[5:6], null, s22, 40, v[0:1]
	;; [unrolled: 1-line block ×4, first 2 shown]
	v_lshl_add_u32 v16, s22, 3, v0
	v_lshl_add_u32 v8, s22, 4, v0
	;; [unrolled: 1-line block ×3, first 2 shown]
	s_lshl_b32 s18, s22, 6
	s_mov_b32 s17, 0
	s_mov_b32 s19, 0
.LBB22_82:                              ; =>This Inner Loop Header: Depth=1
	ds_load_b64 v[26:27], v0
	ds_load_2addr_b64 v[18:21], v15 offset1:1
	ds_load_2addr_b64 v[22:25], v15 offset0:2 offset1:3
	ds_load_b64 v[28:29], v16
	ds_load_b64 v[30:31], v8
	;; [unrolled: 1-line block ×3, first 2 shown]
	s_add_i32 s19, s19, 8
	v_add_nc_u32_e32 v16, s18, v16
	v_cmp_eq_u32_e32 vcc_lo, s19, v13
	v_add_nc_u32_e32 v8, s18, v8
	v_add_nc_u32_e32 v17, s18, v17
	;; [unrolled: 1-line block ×3, first 2 shown]
	s_or_b32 s17, vcc_lo, s17
	s_waitcnt lgkmcnt(4)
	v_fma_f64 v[2:3], -v[26:27], v[18:19], v[2:3]
	s_waitcnt lgkmcnt(2)
	s_delay_alu instid0(VALU_DEP_1) | instskip(SKIP_1) | instid1(VALU_DEP_1)
	v_fma_f64 v[2:3], -v[28:29], v[20:21], v[2:3]
	s_waitcnt lgkmcnt(1)
	v_fma_f64 v[2:3], -v[30:31], v[22:23], v[2:3]
	ds_load_b64 v[18:19], v4
	ds_load_b64 v[26:27], v5
	;; [unrolled: 1-line block ×4, first 2 shown]
	v_add_nc_u32_e32 v4, s18, v4
	v_add_nc_u32_e32 v5, s18, v5
	;; [unrolled: 1-line block ×4, first 2 shown]
	s_waitcnt lgkmcnt(3)
	v_fma_f64 v[2:3], -v[18:19], v[24:25], v[2:3]
	ds_load_2addr_b64 v[18:21], v15 offset0:4 offset1:5
	ds_load_2addr_b64 v[22:25], v15 offset0:6 offset1:7
	v_add_nc_u32_e32 v15, 64, v15
	s_waitcnt lgkmcnt(1)
	v_fma_f64 v[2:3], -v[32:33], v[18:19], v[2:3]
	s_delay_alu instid0(VALU_DEP_1) | instskip(SKIP_1) | instid1(VALU_DEP_1)
	v_fma_f64 v[2:3], -v[26:27], v[20:21], v[2:3]
	s_waitcnt lgkmcnt(0)
	v_fma_f64 v[2:3], -v[28:29], v[22:23], v[2:3]
	s_delay_alu instid0(VALU_DEP_1)
	v_fma_f64 v[2:3], -v[30:31], v[24:25], v[2:3]
	s_and_not1_b32 exec_lo, exec_lo, s17
	s_cbranch_execnz .LBB22_82
; %bb.83:
	s_or_b32 exec_lo, exec_lo, s17
.LBB22_84:
	s_delay_alu instid0(SALU_CYCLE_1) | instskip(SKIP_3) | instid1(VALU_DEP_1)
	s_or_b32 exec_lo, exec_lo, s4
	v_and_b32_e32 v0, 7, v14
	s_mov_b32 s17, 0
	s_mov_b32 s4, exec_lo
	v_cmpx_ne_u32_e32 0, v0
	s_cbranch_execz .LBB22_88
; %bb.85:
	v_add_nc_u32_e32 v4, v12, v13
	v_mad_u32_u24 v5, v13, s22, v10
	s_lshl_b32 s18, s22, 3
	s_delay_alu instid0(VALU_DEP_2) | instskip(NEXT) | instid1(VALU_DEP_2)
	v_lshl_add_u32 v4, v4, 3, 0x800
	v_lshl_add_u32 v5, v5, 3, 0x1800
.LBB22_86:                              ; =>This Inner Loop Header: Depth=1
	ds_load_b64 v[6:7], v5
	ds_load_b64 v[12:13], v4
	v_add_nc_u32_e32 v0, -1, v0
	v_add_nc_u32_e32 v4, 8, v4
	v_add_nc_u32_e32 v5, s18, v5
	s_delay_alu instid0(VALU_DEP_3)
	v_cmp_eq_u32_e32 vcc_lo, 0, v0
	s_or_b32 s17, vcc_lo, s17
	s_waitcnt lgkmcnt(0)
	v_fma_f64 v[2:3], -v[6:7], v[12:13], v[2:3]
	s_and_not1_b32 exec_lo, exec_lo, s17
	s_cbranch_execnz .LBB22_86
; %bb.87:
	s_or_b32 exec_lo, exec_lo, s17
.LBB22_88:
	s_delay_alu instid0(SALU_CYCLE_1) | instskip(SKIP_2) | instid1(VALU_DEP_2)
	s_or_b32 exec_lo, exec_lo, s4
	v_mad_i64_i32 v[4:5], null, v11, s6, 0
	v_add_lshl_u32 v0, s22, v10, 3
	v_lshlrev_b64 v[4:5], 3, v[4:5]
	s_delay_alu instid0(VALU_DEP_1) | instskip(NEXT) | instid1(VALU_DEP_2)
	v_add_co_u32 v4, vcc_lo, s12, v4
	v_add_co_ci_u32_e32 v5, vcc_lo, s13, v5, vcc_lo
	s_delay_alu instid0(VALU_DEP_2) | instskip(NEXT) | instid1(VALU_DEP_2)
	v_add_co_u32 v4, vcc_lo, v4, v0
	v_add_co_ci_u32_e32 v5, vcc_lo, 0, v5, vcc_lo
	global_store_b64 v[4:5], v[2:3], off
.LBB22_89:
	s_or_b32 exec_lo, exec_lo, s16
	s_and_saveexec_b32 s4, s3
	s_cbranch_execz .LBB22_101
.LBB22_90:
	v_mov_b32_e32 v3, 0
	v_mov_b32_e32 v4, 0
	s_and_saveexec_b32 s3, s2
	s_cbranch_execnz .LBB22_93
; %bb.91:
	s_or_b32 exec_lo, exec_lo, s3
	s_delay_alu instid0(SALU_CYCLE_1)
	s_and_b32 vcc_lo, exec_lo, s5
	s_mov_b32 s2, -1
	s_cbranch_vccnz .LBB22_94
.LBB22_92:
	s_and_not1_b32 vcc_lo, exec_lo, s2
	s_cbranch_vccz .LBB22_98
	s_branch .LBB22_101
.LBB22_93:
	s_add_u32 s2, s6, 1
	s_addc_u32 s4, s7, 0
	s_mul_hi_u32 s16, s2, s22
	s_mul_i32 s4, s4, s22
	s_delay_alu instid0(SALU_CYCLE_1) | instskip(SKIP_1) | instid1(SALU_CYCLE_1)
	s_add_i32 s17, s16, s4
	s_mul_i32 s16, s2, s22
	v_dual_mov_b32 v3, s16 :: v_dual_mov_b32 v4, s17
	s_or_b32 exec_lo, exec_lo, s3
	s_delay_alu instid0(SALU_CYCLE_1)
	s_and_b32 vcc_lo, exec_lo, s5
	s_mov_b32 s2, -1
	s_cbranch_vccz .LBB22_92
.LBB22_94:
	s_mov_b32 s2, exec_lo
	v_cmpx_gt_i32_e64 s22, v1
	s_cbranch_execz .LBB22_97
; %bb.95:
	s_cmp_lt_u32 s23, 16
	v_ashrrev_i32_e32 v2, 31, v1
	s_cselect_b32 s3, s23, 16
	s_cselect_b32 s4, 0, 0
	s_add_u32 s3, s3, -1
	s_addc_u32 s4, s4, -1
	s_mul_i32 s5, s3, s7
	s_mul_hi_u32 s16, s3, s6
	s_mul_i32 s4, s4, s6
	s_add_i32 s5, s16, s5
	v_lshlrev_b64 v[5:6], 3, v[3:4]
	s_add_i32 s5, s5, s4
	s_mul_i32 s4, s3, s6
	v_lshlrev_b64 v[7:8], 3, v[1:2]
	s_lshl_b64 s[4:5], s[4:5], 3
	v_xad_u32 v0, v1, -1, s22
	s_add_u32 s3, s4, s10
	s_addc_u32 s4, s5, s11
	s_add_u32 s3, s3, s8
	s_addc_u32 s4, s4, s9
	;; [unrolled: 2-line block ×3, first 2 shown]
	v_add_co_u32 v2, vcc_lo, s0, v5
	v_add_co_ci_u32_e32 v5, vcc_lo, s1, v6, vcc_lo
	v_lshl_add_u32 v0, v0, 3, v9
	s_delay_alu instid0(VALU_DEP_3) | instskip(NEXT) | instid1(VALU_DEP_3)
	v_add_co_u32 v2, vcc_lo, v2, v7
	v_add_co_ci_u32_e32 v6, vcc_lo, v5, v8, vcc_lo
	s_lshl_b64 s[4:5], s[6:7], 3
	s_delay_alu instid0(VALU_DEP_2) | instskip(NEXT) | instid1(VALU_DEP_2)
	v_add_co_u32 v5, vcc_lo, s14, v2
	v_add_co_ci_u32_e32 v6, vcc_lo, s15, v6, vcc_lo
	s_sub_u32 s3, 0, s4
	s_mov_b32 s1, 0
	s_subb_u32 s4, 0, s5
	s_lshl_b32 s5, s22, 3
	s_mov_b32 s8, s22
.LBB22_96:                              ; =>This Inner Loop Header: Depth=1
	ds_load_b64 v[7:8], v0
	s_add_i32 s8, s8, -1
	v_add_nc_u32_e32 v0, s5, v0
	v_cmp_le_i32_e32 vcc_lo, s8, v1
	s_or_b32 s1, vcc_lo, s1
	s_waitcnt lgkmcnt(0)
	global_store_b64 v[5:6], v[7:8], off
	v_add_co_u32 v5, s0, v5, s3
	s_delay_alu instid0(VALU_DEP_1)
	v_add_co_ci_u32_e64 v6, s0, s4, v6, s0
	s_and_not1_b32 exec_lo, exec_lo, s1
	s_cbranch_execnz .LBB22_96
.LBB22_97:
	s_or_b32 exec_lo, exec_lo, s2
	s_cbranch_execnz .LBB22_101
.LBB22_98:
	v_cmp_lt_i32_e32 vcc_lo, -1, v1
	s_and_b32 exec_lo, exec_lo, vcc_lo
	s_cbranch_execz .LBB22_101
; %bb.99:
	v_mov_b32_e32 v2, 0
	v_lshlrev_b64 v[3:4], 3, v[3:4]
	v_lshl_add_u32 v0, v1, 3, v9
	s_lshl_b64 s[2:3], s[6:7], 3
	s_lshl_b32 s1, s22, 3
	v_lshlrev_b64 v[5:6], 3, v[1:2]
	v_add_nc_u32_e32 v1, 1, v1
	v_add_co_u32 v2, vcc_lo, s12, v3
	v_add_co_ci_u32_e32 v3, vcc_lo, s13, v4, vcc_lo
	s_mov_b32 s4, 0
	s_delay_alu instid0(VALU_DEP_2) | instskip(NEXT) | instid1(VALU_DEP_2)
	v_add_co_u32 v2, vcc_lo, v2, v5
	v_add_co_ci_u32_e32 v3, vcc_lo, v3, v6, vcc_lo
.LBB22_100:                             ; =>This Inner Loop Header: Depth=1
	ds_load_b64 v[4:5], v0
	v_add_nc_u32_e32 v1, -1, v1
	v_add_nc_u32_e32 v0, s1, v0
	s_delay_alu instid0(VALU_DEP_2) | instskip(SKIP_4) | instid1(VALU_DEP_1)
	v_cmp_eq_u32_e32 vcc_lo, 0, v1
	s_or_b32 s4, vcc_lo, s4
	s_waitcnt lgkmcnt(0)
	global_store_b64 v[2:3], v[4:5], off
	v_add_co_u32 v2, s0, v2, s2
	v_add_co_ci_u32_e64 v3, s0, s3, v3, s0
	s_and_not1_b32 exec_lo, exec_lo, s4
	s_cbranch_execnz .LBB22_100
.LBB22_101:
	s_nop 0
	s_sendmsg sendmsg(MSG_DEALLOC_VGPRS)
	s_endpgm
	.section	.rodata,"a",@progbits
	.p2align	6, 0x0
	.amdhsa_kernel _ZL29rocblas_trtri_diagonal_kernelILi16EdPKPKdPKPdEv13rocblas_fill_17rocblas_diagonal_iT1_lillT2_lilli
		.amdhsa_group_segment_fixed_size 8192
		.amdhsa_private_segment_fixed_size 0
		.amdhsa_kernarg_size 100
		.amdhsa_user_sgpr_count 14
		.amdhsa_user_sgpr_dispatch_ptr 0
		.amdhsa_user_sgpr_queue_ptr 0
		.amdhsa_user_sgpr_kernarg_segment_ptr 1
		.amdhsa_user_sgpr_dispatch_id 0
		.amdhsa_user_sgpr_private_segment_size 0
		.amdhsa_wavefront_size32 1
		.amdhsa_uses_dynamic_stack 0
		.amdhsa_enable_private_segment 0
		.amdhsa_system_sgpr_workgroup_id_x 1
		.amdhsa_system_sgpr_workgroup_id_y 0
		.amdhsa_system_sgpr_workgroup_id_z 1
		.amdhsa_system_sgpr_workgroup_info 0
		.amdhsa_system_vgpr_workitem_id 0
		.amdhsa_next_free_vgpr 34
		.amdhsa_next_free_sgpr 37
		.amdhsa_reserve_vcc 1
		.amdhsa_float_round_mode_32 0
		.amdhsa_float_round_mode_16_64 0
		.amdhsa_float_denorm_mode_32 3
		.amdhsa_float_denorm_mode_16_64 3
		.amdhsa_dx10_clamp 1
		.amdhsa_ieee_mode 1
		.amdhsa_fp16_overflow 0
		.amdhsa_workgroup_processor_mode 1
		.amdhsa_memory_ordered 1
		.amdhsa_forward_progress 0
		.amdhsa_shared_vgpr_count 0
		.amdhsa_exception_fp_ieee_invalid_op 0
		.amdhsa_exception_fp_denorm_src 0
		.amdhsa_exception_fp_ieee_div_zero 0
		.amdhsa_exception_fp_ieee_overflow 0
		.amdhsa_exception_fp_ieee_underflow 0
		.amdhsa_exception_fp_ieee_inexact 0
		.amdhsa_exception_int_div_zero 0
	.end_amdhsa_kernel
	.section	.text._ZL29rocblas_trtri_diagonal_kernelILi16EdPKPKdPKPdEv13rocblas_fill_17rocblas_diagonal_iT1_lillT2_lilli,"axG",@progbits,_ZL29rocblas_trtri_diagonal_kernelILi16EdPKPKdPKPdEv13rocblas_fill_17rocblas_diagonal_iT1_lillT2_lilli,comdat
.Lfunc_end22:
	.size	_ZL29rocblas_trtri_diagonal_kernelILi16EdPKPKdPKPdEv13rocblas_fill_17rocblas_diagonal_iT1_lillT2_lilli, .Lfunc_end22-_ZL29rocblas_trtri_diagonal_kernelILi16EdPKPKdPKPdEv13rocblas_fill_17rocblas_diagonal_iT1_lillT2_lilli
                                        ; -- End function
	.section	.AMDGPU.csdata,"",@progbits
; Kernel info:
; codeLenInByte = 4300
; NumSgprs: 39
; NumVgprs: 34
; ScratchSize: 0
; MemoryBound: 0
; FloatMode: 240
; IeeeMode: 1
; LDSByteSize: 8192 bytes/workgroup (compile time only)
; SGPRBlocks: 4
; VGPRBlocks: 4
; NumSGPRsForWavesPerEU: 39
; NumVGPRsForWavesPerEU: 34
; Occupancy: 16
; WaveLimiterHint : 1
; COMPUTE_PGM_RSRC2:SCRATCH_EN: 0
; COMPUTE_PGM_RSRC2:USER_SGPR: 14
; COMPUTE_PGM_RSRC2:TRAP_HANDLER: 0
; COMPUTE_PGM_RSRC2:TGID_X_EN: 1
; COMPUTE_PGM_RSRC2:TGID_Y_EN: 0
; COMPUTE_PGM_RSRC2:TGID_Z_EN: 1
; COMPUTE_PGM_RSRC2:TIDIG_COMP_CNT: 0
	.section	.text._ZL30rocblas_trtri_remainder_kernelILi16EdPKPKdPKPdEv13rocblas_fill_17rocblas_diagonal_iT1_lillT2_lilli,"axG",@progbits,_ZL30rocblas_trtri_remainder_kernelILi16EdPKPKdPKPdEv13rocblas_fill_17rocblas_diagonal_iT1_lillT2_lilli,comdat
	.globl	_ZL30rocblas_trtri_remainder_kernelILi16EdPKPKdPKPdEv13rocblas_fill_17rocblas_diagonal_iT1_lillT2_lilli ; -- Begin function _ZL30rocblas_trtri_remainder_kernelILi16EdPKPKdPKPdEv13rocblas_fill_17rocblas_diagonal_iT1_lillT2_lilli
	.p2align	8
	.type	_ZL30rocblas_trtri_remainder_kernelILi16EdPKPKdPKPdEv13rocblas_fill_17rocblas_diagonal_iT1_lillT2_lilli,@function
_ZL30rocblas_trtri_remainder_kernelILi16EdPKPKdPKPdEv13rocblas_fill_17rocblas_diagonal_iT1_lillT2_lilli: ; @_ZL30rocblas_trtri_remainder_kernelILi16EdPKPKdPKPdEv13rocblas_fill_17rocblas_diagonal_iT1_lillT2_lilli
; %bb.0:
	s_load_b128 s[8:11], s[0:1], 0x0
	s_waitcnt lgkmcnt(0)
	s_cmp_lt_i32 s10, 1
	s_cbranch_scc1 .LBB23_46
; %bb.1:
	s_clause 0x1
	s_load_b128 s[16:19], s[0:1], 0x30
	s_load_b64 s[20:21], s[0:1], 0x40
	s_mov_b32 s2, s15
	s_mov_b32 s3, 0
	s_delay_alu instid0(SALU_CYCLE_1)
	s_lshl_b64 s[22:23], s[2:3], 3
	s_waitcnt lgkmcnt(0)
	s_add_u32 s2, s18, s22
	s_addc_u32 s3, s19, s23
	s_load_b64 s[12:13], s[2:3], 0x0
	v_cmp_le_u32_e64 s3, s10, v0
	v_cmp_gt_u32_e64 s2, s10, v0
	s_delay_alu instid0(VALU_DEP_1)
	s_and_saveexec_b32 s11, s2
	s_cbranch_execz .LBB23_14
; %bb.2:
	s_clause 0x1
	s_load_b128 s[4:7], s[0:1], 0x10
	s_load_b32 s18, s[0:1], 0x20
	s_waitcnt lgkmcnt(0)
	s_add_u32 s4, s4, s22
	s_addc_u32 s5, s5, s23
	s_load_b64 s[22:23], s[4:5], 0x0
	s_mul_i32 s4, s14, s17
	s_mul_hi_u32 s5, s14, s16
	s_mul_i32 s16, s14, s16
	s_add_i32 s17, s5, s4
	s_cmpk_lg_i32 s8, 0x7a
	s_mov_b32 s4, -1
	s_cbranch_scc0 .LBB23_6
; %bb.3:
	s_ashr_i32 s19, s18, 31
	s_lshl_b32 s5, s10, 3
	s_ashr_i32 s4, s10, 31
	s_add_u32 s15, s10, -1
	s_addc_u32 s4, s4, -1
	s_mul_i32 s24, s15, s19
	s_mul_hi_u32 s25, s15, s18
	s_mul_i32 s4, s4, s18
	s_add_i32 s24, s25, s24
	s_lshl_b64 s[26:27], s[16:17], 3
	s_add_i32 s25, s24, s4
	s_mul_i32 s24, s15, s18
	v_lshlrev_b32_e32 v1, 3, v0
	s_lshl_b64 s[24:25], s[24:25], 3
	s_delay_alu instid0(SALU_CYCLE_1)
	s_add_u32 s4, s24, s26
	s_addc_u32 s15, s25, s27
	s_lshl_b64 s[24:25], s[6:7], 3
	v_sub_nc_u32_e32 v2, s5, v1
	s_add_u32 s4, s4, s24
	s_addc_u32 s15, s15, s25
	s_waitcnt lgkmcnt(0)
	s_add_u32 s4, s22, s4
	s_addc_u32 s15, s23, s15
	v_add_co_u32 v1, s4, s4, v1
	v_add_nc_u32_e32 v3, -8, v2
	s_lshl_b64 s[24:25], s[18:19], 3
	v_add_co_ci_u32_e64 v2, null, s15, 0, s4
	s_sub_u32 s15, 0, s24
	s_subb_u32 s24, 0, s25
	s_mov_b32 s19, 0
	s_mov_b32 s25, s10
.LBB23_4:                               ; =>This Inner Loop Header: Depth=1
	global_load_b64 v[4:5], v[1:2], off
	s_add_i32 s25, s25, -1
	v_add_co_u32 v1, vcc_lo, v1, s15
	v_cmp_le_i32_e64 s4, s25, v0
	v_add_co_ci_u32_e32 v2, vcc_lo, s24, v2, vcc_lo
	s_delay_alu instid0(VALU_DEP_2)
	s_or_b32 s19, s4, s19
	s_waitcnt vmcnt(0)
	ds_store_b64 v3, v[4:5]
	v_add_nc_u32_e32 v3, s5, v3
	s_and_not1_b32 exec_lo, exec_lo, s19
	s_cbranch_execnz .LBB23_4
; %bb.5:
	s_or_b32 exec_lo, exec_lo, s19
	s_mov_b32 s4, 0
.LBB23_6:
	s_delay_alu instid0(SALU_CYCLE_1)
	s_and_b32 vcc_lo, exec_lo, s4
	s_cbranch_vccz .LBB23_14
; %bb.7:
	v_dual_mov_b32 v3, 0 :: v_dual_add_nc_u32 v4, 1, v0
	s_ashr_i32 s19, s18, 31
	s_mov_b32 s5, exec_lo
	v_cmpx_lt_u32_e32 2, v0
	s_cbranch_execz .LBB23_11
; %bb.8:
	s_lshl_b64 s[24:25], s[6:7], 3
	v_lshlrev_b32_e32 v5, 3, v0
	s_waitcnt lgkmcnt(0)
	s_add_u32 s4, s22, s24
	s_addc_u32 s15, s23, s25
	s_lshl_b64 s[24:25], s[16:17], 3
	v_and_b32_e32 v3, 0x7fc, v4
	s_add_u32 s4, s4, s24
	s_addc_u32 s15, s15, s25
	v_add_co_u32 v1, s4, s4, v5
	s_delay_alu instid0(VALU_DEP_1)
	v_add_co_ci_u32_e64 v2, null, s15, 0, s4
	s_mul_hi_i32 s15, s18, 24
	s_mul_i32 s30, s18, 24
	s_lshl_b64 s[24:25], s[18:19], 5
	s_lshl_b64 s[26:27], s[18:19], 4
	;; [unrolled: 1-line block ×3, first 2 shown]
	s_lshl_b32 s31, s10, 3
	s_lshl_b32 s33, s10, 5
	;; [unrolled: 1-line block ×3, first 2 shown]
	s_mul_i32 s36, s10, 24
	s_mov_b32 s35, 0
	s_mov_b32 s37, 0
	s_set_inst_prefetch_distance 0x1
	.p2align	6
.LBB23_9:                               ; =>This Inner Loop Header: Depth=1
	v_add_co_u32 v6, vcc_lo, v1, s28
	v_add_co_ci_u32_e32 v7, vcc_lo, s29, v2, vcc_lo
	v_add_co_u32 v8, vcc_lo, v1, s26
	v_add_co_ci_u32_e32 v9, vcc_lo, s27, v2, vcc_lo
	;; [unrolled: 2-line block ×3, first 2 shown]
	s_clause 0x3
	global_load_b64 v[12:13], v[1:2], off
	global_load_b64 v[6:7], v[6:7], off
	;; [unrolled: 1-line block ×4, first 2 shown]
	s_add_i32 s37, s37, 4
	v_add_co_u32 v1, s4, v1, s24
	v_cmp_eq_u32_e32 vcc_lo, s37, v3
	v_add_nc_u32_e32 v14, s31, v5
	v_add_nc_u32_e32 v15, s34, v5
	;; [unrolled: 1-line block ×3, first 2 shown]
	v_add_co_ci_u32_e64 v2, s4, s25, v2, s4
	s_or_b32 s35, vcc_lo, s35
	s_waitcnt vmcnt(3)
	ds_store_b64 v5, v[12:13]
	v_add_nc_u32_e32 v5, s33, v5
	s_waitcnt vmcnt(2)
	ds_store_b64 v14, v[6:7]
	s_waitcnt vmcnt(1)
	ds_store_b64 v15, v[8:9]
	;; [unrolled: 2-line block ×3, first 2 shown]
	s_and_not1_b32 exec_lo, exec_lo, s35
	s_cbranch_execnz .LBB23_9
; %bb.10:
	s_set_inst_prefetch_distance 0x2
	s_or_b32 exec_lo, exec_lo, s35
.LBB23_11:
	s_delay_alu instid0(SALU_CYCLE_1) | instskip(SKIP_2) | instid1(VALU_DEP_1)
	s_or_b32 exec_lo, exec_lo, s5
	v_and_b32_e32 v4, 3, v4
	s_mov_b32 s5, 0
	v_cmp_ne_u32_e32 vcc_lo, 0, v4
	s_and_b32 exec_lo, exec_lo, vcc_lo
	s_cbranch_execz .LBB23_14
; %bb.12:
	v_mad_i64_i32 v[1:2], null, s18, v3, 0
	s_lshl_b64 s[16:17], s[16:17], 3
	s_lshl_b64 s[6:7], s[6:7], 3
	s_lshl_b32 s15, s10, 3
	s_add_u32 s4, s6, s16
	v_lshlrev_b32_e32 v5, 3, v0
	s_addc_u32 s6, s7, s17
	s_delay_alu instid0(VALU_DEP_2) | instskip(SKIP_1) | instid1(VALU_DEP_2)
	v_lshlrev_b64 v[1:2], 3, v[1:2]
	v_mul_lo_u32 v3, v3, s10
	v_add_co_u32 v1, vcc_lo, s4, v1
	s_delay_alu instid0(VALU_DEP_3) | instskip(NEXT) | instid1(VALU_DEP_3)
	v_add_co_ci_u32_e32 v2, vcc_lo, s6, v2, vcc_lo
	v_add_lshl_u32 v3, v0, v3, 3
	s_delay_alu instid0(VALU_DEP_3) | instskip(NEXT) | instid1(VALU_DEP_3)
	v_add_co_u32 v1, vcc_lo, v1, v5
	v_add_co_ci_u32_e32 v2, vcc_lo, 0, v2, vcc_lo
	s_lshl_b64 s[6:7], s[18:19], 3
	s_waitcnt lgkmcnt(0)
	s_delay_alu instid0(VALU_DEP_2) | instskip(NEXT) | instid1(VALU_DEP_2)
	v_add_co_u32 v1, vcc_lo, s22, v1
	v_add_co_ci_u32_e32 v2, vcc_lo, s23, v2, vcc_lo
.LBB23_13:                              ; =>This Inner Loop Header: Depth=1
	global_load_b64 v[5:6], v[1:2], off
	v_add_nc_u32_e32 v4, -1, v4
	v_add_co_u32 v1, vcc_lo, v1, s6
	v_add_co_ci_u32_e32 v2, vcc_lo, s7, v2, vcc_lo
	s_delay_alu instid0(VALU_DEP_3) | instskip(NEXT) | instid1(VALU_DEP_1)
	v_cmp_eq_u32_e64 s4, 0, v4
	s_or_b32 s5, s4, s5
	s_waitcnt vmcnt(0)
	ds_store_b64 v3, v[5:6]
	v_add_nc_u32_e32 v3, s15, v3
	s_and_not1_b32 exec_lo, exec_lo, s5
	s_cbranch_execnz .LBB23_13
.LBB23_14:
	s_or_b32 exec_lo, exec_lo, s11
	s_waitcnt lgkmcnt(0)
	s_barrier
	buffer_gl0_inv
                                        ; implicit-def: $vgpr1
	s_and_saveexec_b32 s4, s3
	s_delay_alu instid0(SALU_CYCLE_1)
	s_xor_b32 s3, exec_lo, s4
; %bb.15:
	v_mad_u64_u32 v[1:2], null, v0, s10, v[0:1]
; %bb.16:
	s_and_not1_saveexec_b32 s3, s3
	s_cbranch_execz .LBB23_22
; %bb.17:
	s_delay_alu instid0(VALU_DEP_1) | instskip(SKIP_3) | instid1(VALU_DEP_3)
	v_mad_u64_u32 v[1:2], null, v0, s10, v[0:1]
	v_mov_b32_e32 v2, 0
	v_mov_b32_e32 v3, 0x3ff00000
	s_cmpk_eq_i32 s9, 0x84
	v_lshlrev_b32_e32 v6, 3, v1
	s_cbranch_scc1 .LBB23_21
; %bb.18:
	ds_load_b64 v[4:5], v6
	v_mov_b32_e32 v2, 0
	v_mov_b32_e32 v3, 0x3ff00000
	s_mov_b32 s4, exec_lo
	s_waitcnt lgkmcnt(0)
	v_cmpx_neq_f64_e32 0, v[4:5]
; %bb.19:
	v_div_scale_f64 v[2:3], null, v[4:5], v[4:5], 1.0
	s_delay_alu instid0(VALU_DEP_1) | instskip(SKIP_2) | instid1(VALU_DEP_1)
	v_rcp_f64_e32 v[7:8], v[2:3]
	s_waitcnt_depctr 0xfff
	v_fma_f64 v[9:10], -v[2:3], v[7:8], 1.0
	v_fma_f64 v[7:8], v[7:8], v[9:10], v[7:8]
	s_delay_alu instid0(VALU_DEP_1) | instskip(NEXT) | instid1(VALU_DEP_1)
	v_fma_f64 v[9:10], -v[2:3], v[7:8], 1.0
	v_fma_f64 v[7:8], v[7:8], v[9:10], v[7:8]
	v_div_scale_f64 v[9:10], vcc_lo, 1.0, v[4:5], 1.0
	s_delay_alu instid0(VALU_DEP_1) | instskip(NEXT) | instid1(VALU_DEP_1)
	v_mul_f64 v[11:12], v[9:10], v[7:8]
	v_fma_f64 v[2:3], -v[2:3], v[11:12], v[9:10]
	s_delay_alu instid0(VALU_DEP_1) | instskip(NEXT) | instid1(VALU_DEP_1)
	v_div_fmas_f64 v[2:3], v[2:3], v[7:8], v[11:12]
	v_div_fixup_f64 v[2:3], v[2:3], v[4:5], 1.0
; %bb.20:
	s_or_b32 exec_lo, exec_lo, s4
.LBB23_21:
	ds_store_b64 v6, v[2:3]
.LBB23_22:
	s_or_b32 exec_lo, exec_lo, s3
	s_delay_alu instid0(VALU_DEP_1)
	v_lshlrev_b32_e32 v3, 3, v1
	v_add_lshl_u32 v4, v0, s10, 3
	s_lshl_b32 s11, s10, 3
	s_mov_b32 s3, 8
	s_add_i32 s4, s11, 8
	s_mov_b32 s5, 0
	s_waitcnt lgkmcnt(0)
	s_barrier
	buffer_gl0_inv
	s_branch .LBB23_24
.LBB23_23:                              ;   in Loop: Header=BB23_24 Depth=1
	s_set_inst_prefetch_distance 0x2
	v_add_nc_u32_e32 v4, s11, v4
	s_add_i32 s3, s3, s4
	s_cmp_eq_u32 s5, s10
	s_barrier
	buffer_gl0_inv
	s_cbranch_scc1 .LBB23_33
.LBB23_24:                              ; =>This Loop Header: Depth=1
                                        ;     Child Loop BB23_29 Depth 2
	s_mul_i32 s7, s5, s10
	v_mov_b32_e32 v1, 0
	v_mov_b32_e32 v2, 0
	v_add_lshl_u32 v5, s7, v0, 3
	s_mov_b32 s6, exec_lo
	v_cmpx_lt_u32_e64 s5, v0
	s_cbranch_execz .LBB23_26
; %bb.25:                               ;   in Loop: Header=BB23_24 Depth=1
	s_add_i32 s7, s7, s5
	s_delay_alu instid0(SALU_CYCLE_1) | instskip(NEXT) | instid1(SALU_CYCLE_1)
	s_lshl_b32 s7, s7, 3
	v_mov_b32_e32 v6, s7
	ds_load_b64 v[1:2], v5
	ds_load_b64 v[6:7], v6
	s_waitcnt lgkmcnt(0)
	v_fma_f64 v[1:2], v[1:2], v[6:7], 0
.LBB23_26:                              ;   in Loop: Header=BB23_24 Depth=1
	s_or_b32 exec_lo, exec_lo, s6
	s_add_i32 s5, s5, 1
	s_delay_alu instid0(SALU_CYCLE_1)
	s_cmp_ge_i32 s5, s10
	s_barrier
	buffer_gl0_inv
	s_cbranch_scc1 .LBB23_23
; %bb.27:                               ;   in Loop: Header=BB23_24 Depth=1
	v_mov_b32_e32 v6, v4
	s_mov_b32 s6, s3
	s_mov_b32 s7, s5
	s_set_inst_prefetch_distance 0x1
	s_branch .LBB23_29
	.p2align	6
.LBB23_28:                              ;   in Loop: Header=BB23_29 Depth=2
	s_or_b32 exec_lo, exec_lo, s9
	v_add_nc_u32_e32 v6, s11, v6
	s_add_i32 s7, s7, 1
	s_add_i32 s6, s6, 8
	s_cmp_ge_i32 s7, s10
	s_barrier
	buffer_gl0_inv
	s_cbranch_scc1 .LBB23_23
.LBB23_29:                              ;   Parent Loop BB23_24 Depth=1
                                        ; =>  This Inner Loop Header: Depth=2
	s_mov_b32 s9, exec_lo
	v_cmpx_eq_u32_e64 s7, v0
	s_cbranch_execz .LBB23_31
; %bb.30:                               ;   in Loop: Header=BB23_29 Depth=2
	v_add_f64 v[7:8], -v[1:2], 0
	ds_load_b64 v[9:10], v3
	s_waitcnt lgkmcnt(0)
	v_mul_f64 v[7:8], v[7:8], v[9:10]
	ds_store_b64 v5, v[7:8]
.LBB23_31:                              ;   in Loop: Header=BB23_29 Depth=2
	s_or_b32 exec_lo, exec_lo, s9
	s_delay_alu instid0(SALU_CYCLE_1)
	s_mov_b32 s9, exec_lo
	s_waitcnt lgkmcnt(0)
	s_barrier
	buffer_gl0_inv
	v_cmpx_lt_u32_e64 s7, v0
	s_cbranch_execz .LBB23_28
; %bb.32:                               ;   in Loop: Header=BB23_29 Depth=2
	v_mov_b32_e32 v9, s6
	ds_load_b64 v[7:8], v6
	ds_load_b64 v[9:10], v9
	s_waitcnt lgkmcnt(0)
	v_fma_f64 v[1:2], v[7:8], v[9:10], v[1:2]
	s_branch .LBB23_28
.LBB23_33:
	s_and_saveexec_b32 s3, s2
	s_cbranch_execz .LBB23_46
; %bb.34:
	s_clause 0x1
	s_load_b64 s[4:5], s[0:1], 0x58
	s_load_b32 s2, s[0:1], 0x48
	v_lshlrev_b32_e32 v3, 3, v0
	s_waitcnt lgkmcnt(0)
	s_mul_i32 s0, s14, s5
	s_mul_hi_u32 s1, s14, s4
	s_mul_i32 s4, s14, s4
	s_add_i32 s5, s1, s0
	s_cmpk_lg_i32 s8, 0x7a
	s_mov_b32 s0, -1
	s_cbranch_scc0 .LBB23_38
; %bb.35:
	s_add_i32 s0, s10, -1
	s_ashr_i32 s3, s2, 31
	s_mul_hi_u32 s6, s2, s0
	s_mul_i32 s1, s3, s0
	s_mul_i32 s0, s2, s0
	s_add_i32 s1, s6, s1
	s_lshl_b64 s[6:7], s[4:5], 3
	s_lshl_b64 s[0:1], s[0:1], 3
	v_lshlrev_b32_e32 v1, 3, v0
	s_add_u32 s6, s6, s0
	s_addc_u32 s7, s7, s1
	s_lshl_b64 s[0:1], s[20:21], 3
	s_delay_alu instid0(SALU_CYCLE_1)
	s_add_u32 s0, s6, s0
	s_addc_u32 s1, s7, s1
	v_sub_nc_u32_e32 v4, s11, v1
	s_add_u32 s0, s12, s0
	s_addc_u32 s1, s13, s1
	v_add_co_u32 v1, s0, s0, v1
	s_lshl_b64 s[6:7], s[2:3], 3
	v_add_co_ci_u32_e64 v2, null, s1, 0, s0
	v_add_nc_u32_e32 v4, -8, v4
	s_sub_u32 s1, 0, s6
	s_subb_u32 s6, 0, s7
	s_mov_b32 s3, 0
	s_mov_b32 s7, s10
.LBB23_36:                              ; =>This Inner Loop Header: Depth=1
	ds_load_b64 v[5:6], v4
	s_add_i32 s7, s7, -1
	v_add_nc_u32_e32 v4, s11, v4
	v_cmp_le_i32_e32 vcc_lo, s7, v0
	s_or_b32 s3, vcc_lo, s3
	s_waitcnt lgkmcnt(0)
	global_store_b64 v[1:2], v[5:6], off
	v_add_co_u32 v1, s0, v1, s1
	s_delay_alu instid0(VALU_DEP_1)
	v_add_co_ci_u32_e64 v2, s0, s6, v2, s0
	s_and_not1_b32 exec_lo, exec_lo, s3
	s_cbranch_execnz .LBB23_36
; %bb.37:
	s_or_b32 exec_lo, exec_lo, s3
	s_mov_b32 s0, 0
.LBB23_38:
	s_delay_alu instid0(SALU_CYCLE_1)
	s_and_b32 vcc_lo, exec_lo, s0
	s_cbranch_vccz .LBB23_46
; %bb.39:
	v_dual_mov_b32 v4, 0 :: v_dual_add_nc_u32 v5, 1, v0
	s_ashr_i32 s3, s2, 31
	s_mov_b32 s1, exec_lo
	v_cmpx_lt_u32_e32 2, v0
	s_cbranch_execz .LBB23_43
; %bb.40:
	s_lshl_b64 s[6:7], s[20:21], 3
	v_and_b32_e32 v4, 0x7fc, v5
	s_add_u32 s0, s12, s6
	s_addc_u32 s8, s13, s7
	s_lshl_b64 s[6:7], s[4:5], 3
	v_mov_b32_e32 v6, v3
	s_add_u32 s0, s0, s6
	s_addc_u32 s6, s8, s7
	v_add_co_u32 v1, s0, s0, v3
	s_delay_alu instid0(VALU_DEP_1)
	v_add_co_ci_u32_e64 v2, null, s6, 0, s0
	s_mul_hi_i32 s16, s2, 24
	s_mul_i32 s17, s2, 24
	s_lshl_b64 s[6:7], s[2:3], 5
	s_lshl_b64 s[8:9], s[2:3], 4
	;; [unrolled: 1-line block ×3, first 2 shown]
	s_lshl_b32 s18, s10, 5
	s_lshl_b32 s19, s10, 4
	s_mul_i32 s23, s10, 24
	s_mov_b32 s22, 0
	s_mov_b32 s24, 0
	s_set_inst_prefetch_distance 0x1
	.p2align	6
.LBB23_41:                              ; =>This Inner Loop Header: Depth=1
	ds_load_b64 v[7:8], v6
	v_add_nc_u32_e32 v11, s11, v6
	v_add_nc_u32_e32 v13, s19, v6
	;; [unrolled: 1-line block ×3, first 2 shown]
	v_add_co_u32 v9, vcc_lo, v1, s14
	ds_load_b64 v[11:12], v11
	ds_load_b64 v[13:14], v13
	;; [unrolled: 1-line block ×3, first 2 shown]
	v_add_co_ci_u32_e32 v10, vcc_lo, s15, v2, vcc_lo
	v_add_co_u32 v17, vcc_lo, v1, s8
	v_add_co_ci_u32_e32 v18, vcc_lo, s9, v2, vcc_lo
	v_add_co_u32 v19, vcc_lo, v1, s17
	s_add_i32 s24, s24, 4
	v_add_co_ci_u32_e32 v20, vcc_lo, s16, v2, vcc_lo
	v_cmp_eq_u32_e32 vcc_lo, s24, v4
	v_add_nc_u32_e32 v6, s18, v6
	s_waitcnt lgkmcnt(3)
	global_store_b64 v[1:2], v[7:8], off
	v_add_co_u32 v1, s0, v1, s6
	s_delay_alu instid0(VALU_DEP_1)
	v_add_co_ci_u32_e64 v2, s0, s7, v2, s0
	s_or_b32 s22, vcc_lo, s22
	s_waitcnt lgkmcnt(2)
	global_store_b64 v[9:10], v[11:12], off
	s_waitcnt lgkmcnt(1)
	global_store_b64 v[17:18], v[13:14], off
	s_waitcnt lgkmcnt(0)
	global_store_b64 v[19:20], v[15:16], off
	s_and_not1_b32 exec_lo, exec_lo, s22
	s_cbranch_execnz .LBB23_41
; %bb.42:
	s_set_inst_prefetch_distance 0x2
	s_or_b32 exec_lo, exec_lo, s22
.LBB23_43:
	s_delay_alu instid0(SALU_CYCLE_1) | instskip(SKIP_2) | instid1(VALU_DEP_1)
	s_or_b32 exec_lo, exec_lo, s1
	v_and_b32_e32 v5, 3, v5
	s_mov_b32 s1, 0
	v_cmp_ne_u32_e32 vcc_lo, 0, v5
	s_and_b32 exec_lo, exec_lo, vcc_lo
	s_cbranch_execz .LBB23_46
; %bb.44:
	v_mad_i64_i32 v[1:2], null, s2, v4, 0
	s_lshl_b64 s[4:5], s[4:5], 3
	s_lshl_b64 s[6:7], s[20:21], 3
	v_mul_lo_u32 v4, v4, s10
	s_add_u32 s0, s6, s4
	s_addc_u32 s4, s7, s5
	s_lshl_b64 s[2:3], s[2:3], 3
	s_delay_alu instid0(VALU_DEP_2) | instskip(NEXT) | instid1(VALU_DEP_2)
	v_lshlrev_b64 v[1:2], 3, v[1:2]
	v_add_lshl_u32 v0, v0, v4, 3
	s_delay_alu instid0(VALU_DEP_2) | instskip(NEXT) | instid1(VALU_DEP_3)
	v_add_co_u32 v1, vcc_lo, s0, v1
	v_add_co_ci_u32_e32 v2, vcc_lo, s4, v2, vcc_lo
	s_delay_alu instid0(VALU_DEP_2) | instskip(NEXT) | instid1(VALU_DEP_2)
	v_add_co_u32 v1, vcc_lo, v1, v3
	v_add_co_ci_u32_e32 v2, vcc_lo, 0, v2, vcc_lo
	s_delay_alu instid0(VALU_DEP_2) | instskip(NEXT) | instid1(VALU_DEP_2)
	v_add_co_u32 v1, vcc_lo, s12, v1
	v_add_co_ci_u32_e32 v2, vcc_lo, s13, v2, vcc_lo
.LBB23_45:                              ; =>This Inner Loop Header: Depth=1
	ds_load_b64 v[3:4], v0
	v_add_nc_u32_e32 v5, -1, v5
	v_add_nc_u32_e32 v0, s11, v0
	s_delay_alu instid0(VALU_DEP_2) | instskip(SKIP_4) | instid1(VALU_DEP_1)
	v_cmp_eq_u32_e32 vcc_lo, 0, v5
	s_or_b32 s1, vcc_lo, s1
	s_waitcnt lgkmcnt(0)
	global_store_b64 v[1:2], v[3:4], off
	v_add_co_u32 v1, s0, v1, s2
	v_add_co_ci_u32_e64 v2, s0, s3, v2, s0
	s_and_not1_b32 exec_lo, exec_lo, s1
	s_cbranch_execnz .LBB23_45
.LBB23_46:
	s_nop 0
	s_sendmsg sendmsg(MSG_DEALLOC_VGPRS)
	s_endpgm
	.section	.rodata,"a",@progbits
	.p2align	6, 0x0
	.amdhsa_kernel _ZL30rocblas_trtri_remainder_kernelILi16EdPKPKdPKPdEv13rocblas_fill_17rocblas_diagonal_iT1_lillT2_lilli
		.amdhsa_group_segment_fixed_size 8192
		.amdhsa_private_segment_fixed_size 0
		.amdhsa_kernarg_size 100
		.amdhsa_user_sgpr_count 14
		.amdhsa_user_sgpr_dispatch_ptr 0
		.amdhsa_user_sgpr_queue_ptr 0
		.amdhsa_user_sgpr_kernarg_segment_ptr 1
		.amdhsa_user_sgpr_dispatch_id 0
		.amdhsa_user_sgpr_private_segment_size 0
		.amdhsa_wavefront_size32 1
		.amdhsa_uses_dynamic_stack 0
		.amdhsa_enable_private_segment 0
		.amdhsa_system_sgpr_workgroup_id_x 1
		.amdhsa_system_sgpr_workgroup_id_y 0
		.amdhsa_system_sgpr_workgroup_id_z 1
		.amdhsa_system_sgpr_workgroup_info 0
		.amdhsa_system_vgpr_workitem_id 0
		.amdhsa_next_free_vgpr 21
		.amdhsa_next_free_sgpr 38
		.amdhsa_reserve_vcc 1
		.amdhsa_float_round_mode_32 0
		.amdhsa_float_round_mode_16_64 0
		.amdhsa_float_denorm_mode_32 3
		.amdhsa_float_denorm_mode_16_64 3
		.amdhsa_dx10_clamp 1
		.amdhsa_ieee_mode 1
		.amdhsa_fp16_overflow 0
		.amdhsa_workgroup_processor_mode 1
		.amdhsa_memory_ordered 1
		.amdhsa_forward_progress 0
		.amdhsa_shared_vgpr_count 0
		.amdhsa_exception_fp_ieee_invalid_op 0
		.amdhsa_exception_fp_denorm_src 0
		.amdhsa_exception_fp_ieee_div_zero 0
		.amdhsa_exception_fp_ieee_overflow 0
		.amdhsa_exception_fp_ieee_underflow 0
		.amdhsa_exception_fp_ieee_inexact 0
		.amdhsa_exception_int_div_zero 0
	.end_amdhsa_kernel
	.section	.text._ZL30rocblas_trtri_remainder_kernelILi16EdPKPKdPKPdEv13rocblas_fill_17rocblas_diagonal_iT1_lillT2_lilli,"axG",@progbits,_ZL30rocblas_trtri_remainder_kernelILi16EdPKPKdPKPdEv13rocblas_fill_17rocblas_diagonal_iT1_lillT2_lilli,comdat
.Lfunc_end23:
	.size	_ZL30rocblas_trtri_remainder_kernelILi16EdPKPKdPKPdEv13rocblas_fill_17rocblas_diagonal_iT1_lillT2_lilli, .Lfunc_end23-_ZL30rocblas_trtri_remainder_kernelILi16EdPKPKdPKPdEv13rocblas_fill_17rocblas_diagonal_iT1_lillT2_lilli
                                        ; -- End function
	.section	.AMDGPU.csdata,"",@progbits
; Kernel info:
; codeLenInByte = 2300
; NumSgprs: 40
; NumVgprs: 21
; ScratchSize: 0
; MemoryBound: 0
; FloatMode: 240
; IeeeMode: 1
; LDSByteSize: 8192 bytes/workgroup (compile time only)
; SGPRBlocks: 4
; VGPRBlocks: 2
; NumSGPRsForWavesPerEU: 40
; NumVGPRsForWavesPerEU: 21
; Occupancy: 16
; WaveLimiterHint : 0
; COMPUTE_PGM_RSRC2:SCRATCH_EN: 0
; COMPUTE_PGM_RSRC2:USER_SGPR: 14
; COMPUTE_PGM_RSRC2:TRAP_HANDLER: 0
; COMPUTE_PGM_RSRC2:TGID_X_EN: 1
; COMPUTE_PGM_RSRC2:TGID_Y_EN: 0
; COMPUTE_PGM_RSRC2:TGID_Z_EN: 1
; COMPUTE_PGM_RSRC2:TIDIG_COMP_CNT: 0
	.section	.text._ZL18rocblas_trtri_fillILi128E19rocblas_complex_numIfEPKPS1_EvP15_rocblas_handle13rocblas_fill_ililT1_llii,"axG",@progbits,_ZL18rocblas_trtri_fillILi128E19rocblas_complex_numIfEPKPS1_EvP15_rocblas_handle13rocblas_fill_ililT1_llii,comdat
	.globl	_ZL18rocblas_trtri_fillILi128E19rocblas_complex_numIfEPKPS1_EvP15_rocblas_handle13rocblas_fill_ililT1_llii ; -- Begin function _ZL18rocblas_trtri_fillILi128E19rocblas_complex_numIfEPKPS1_EvP15_rocblas_handle13rocblas_fill_ililT1_llii
	.p2align	8
	.type	_ZL18rocblas_trtri_fillILi128E19rocblas_complex_numIfEPKPS1_EvP15_rocblas_handle13rocblas_fill_ililT1_llii,@function
_ZL18rocblas_trtri_fillILi128E19rocblas_complex_numIfEPKPS1_EvP15_rocblas_handle13rocblas_fill_ililT1_llii: ; @_ZL18rocblas_trtri_fillILi128E19rocblas_complex_numIfEPKPS1_EvP15_rocblas_handle13rocblas_fill_ililT1_llii
; %bb.0:
	s_clause 0x1
	s_load_b64 s[2:3], s[0:1], 0x10
	s_load_b32 s6, s[0:1], 0x40
	s_mov_b32 s12, s15
	s_mov_b32 s15, 0
	s_delay_alu instid0(SALU_CYCLE_1) | instskip(NEXT) | instid1(SALU_CYCLE_1)
	s_lshl_b64 s[4:5], s[14:15], 7
	v_mov_b32_e32 v1, s5
	v_or_b32_e32 v0, s4, v0
	s_waitcnt lgkmcnt(0)
	s_mul_i32 s4, s6, s3
	s_mul_hi_u32 s5, s6, s2
	s_ashr_i32 s7, s6, 31
	s_add_i32 s4, s5, s4
	s_mul_i32 s7, s7, s2
	s_mul_i32 s8, s6, s2
	s_add_i32 s9, s4, s7
	s_mov_b32 s4, exec_lo
	v_cmpx_gt_u64_e64 s[8:9], v[0:1]
	s_cbranch_execz .LBB24_16
; %bb.1:
	s_clause 0x1
	s_load_b32 s10, s[0:1], 0x18
	s_load_b128 s[4:7], s[0:1], 0x20
	s_mov_b32 s13, s15
	s_load_b64 s[16:17], s[0:1], 0x30
	s_lshl_b64 s[12:13], s[12:13], 3
	v_cvt_f32_u32_e32 v4, s2
	v_cvt_f32_u32_e32 v2, s2
	;; [unrolled: 1-line block ×3, first 2 shown]
	s_delay_alu instid0(VALU_DEP_3) | instskip(NEXT) | instid1(VALU_DEP_1)
	v_rcp_iflag_f32_e32 v4, v4
	v_fmamk_f32 v5, v3, 0x4f800000, v2
	s_delay_alu instid0(VALU_DEP_1)
	v_rcp_f32_e32 v5, v5
	s_waitcnt_depctr 0xfff
	v_mul_f32_e32 v4, 0x4f7ffffe, v4
	s_waitcnt lgkmcnt(0)
	s_ashr_i32 s11, s10, 31
	s_add_u32 s6, s6, s12
	s_addc_u32 s7, s7, s13
	s_load_b64 s[12:13], s[6:7], 0x0
	s_load_b64 s[6:7], s[0:1], 0x8
	s_lshl_b64 s[16:17], s[16:17], 3
	v_cvt_u32_f32_e32 v6, v4
	v_mul_f32_e32 v5, 0x5f7ffffc, v5
	s_clause 0x1
	s_load_b32 s20, s[0:1], 0x48
	s_load_b32 s0, s[0:1], 0x54
	s_delay_alu instid0(VALU_DEP_1) | instskip(NEXT) | instid1(VALU_DEP_1)
	v_mul_f32_e32 v4, 0x2f800000, v5
	v_trunc_f32_e32 v8, v4
	s_delay_alu instid0(VALU_DEP_1)
	v_dual_mov_b32 v4, 0 :: v_dual_fmamk_f32 v5, v8, 0xcf800000, v5
	s_waitcnt lgkmcnt(0)
	s_add_u32 s14, s12, s16
	s_addc_u32 s16, s13, s17
	s_add_i32 s12, s7, -2
	s_ashr_i32 s17, s7, 31
	v_cvt_f64_i32_e32 v[2:3], s12
	s_add_i32 s12, s7, -1
	v_cvt_u32_f32_e32 v11, v5
	s_mul_hi_i32 s13, s12, s7
	s_mul_i32 s12, s12, s7
	v_cvt_u32_f32_e32 v12, v8
	s_lshl_b64 s[18:19], s[12:13], 2
	s_delay_alu instid0(SALU_CYCLE_1)
	s_add_u32 s1, s18, -7
	s_addc_u32 s18, s19, -1
	s_sub_i32 s19, 0, s2
	s_and_b32 s0, s0, 0xffff
	v_mul_lo_u32 v7, s19, v6
	s_lshr_b64 s[12:13], s[12:13], 1
	s_mul_hi_u32 s19, s0, s20
	s_mul_i32 s20, s0, s20
	s_delay_alu instid0(VALU_DEP_1) | instskip(NEXT) | instid1(VALU_DEP_1)
	v_mul_hi_u32 v7, v6, v7
	v_add_nc_u32_e32 v13, v6, v7
	s_branch .LBB24_3
.LBB24_2:                               ;   in Loop: Header=BB24_3 Depth=1
	v_add_co_u32 v0, vcc_lo, v0, s20
	v_add_co_ci_u32_e32 v1, vcc_lo, s19, v1, vcc_lo
	s_delay_alu instid0(VALU_DEP_1) | instskip(SKIP_1) | instid1(SALU_CYCLE_1)
	v_cmp_le_u64_e32 vcc_lo, s[8:9], v[0:1]
	s_or_b32 s15, vcc_lo, s15
	s_and_not1_b32 exec_lo, exec_lo, s15
	s_cbranch_execz .LBB24_16
.LBB24_3:                               ; =>This Inner Loop Header: Depth=1
	v_or_b32_e32 v5, s3, v1
	s_delay_alu instid0(VALU_DEP_1) | instskip(SKIP_1) | instid1(SALU_CYCLE_1)
	v_cmp_ne_u64_e32 vcc_lo, 0, v[4:5]
                                        ; implicit-def: $vgpr5_vgpr6
	s_and_saveexec_b32 s0, vcc_lo
	s_xor_b32 s21, exec_lo, s0
	s_cbranch_execz .LBB24_5
; %bb.4:                                ;   in Loop: Header=BB24_3 Depth=1
	s_sub_u32 s0, 0, s2
	s_subb_u32 s22, 0, s3
	v_mul_hi_u32 v5, s0, v11
	v_mul_lo_u32 v6, s0, v12
	v_mul_lo_u32 v7, s22, v11
	s_delay_alu instid0(VALU_DEP_2) | instskip(SKIP_1) | instid1(VALU_DEP_2)
	v_add_nc_u32_e32 v5, v5, v6
	v_mul_lo_u32 v6, s0, v11
	v_add_nc_u32_e32 v5, v5, v7
	s_delay_alu instid0(VALU_DEP_2) | instskip(NEXT) | instid1(VALU_DEP_2)
	v_mul_hi_u32 v7, v11, v6
	v_mul_lo_u32 v8, v11, v5
	v_mul_hi_u32 v9, v11, v5
	v_mul_hi_u32 v10, v12, v6
	v_mul_lo_u32 v6, v12, v6
	v_mul_hi_u32 v14, v12, v5
	v_mul_lo_u32 v5, v12, v5
	v_add_co_u32 v7, vcc_lo, v7, v8
	v_add_co_ci_u32_e32 v8, vcc_lo, 0, v9, vcc_lo
	s_delay_alu instid0(VALU_DEP_2) | instskip(NEXT) | instid1(VALU_DEP_2)
	v_add_co_u32 v6, vcc_lo, v7, v6
	v_add_co_ci_u32_e32 v6, vcc_lo, v8, v10, vcc_lo
	v_add_co_ci_u32_e32 v7, vcc_lo, 0, v14, vcc_lo
	s_delay_alu instid0(VALU_DEP_2) | instskip(NEXT) | instid1(VALU_DEP_2)
	v_add_co_u32 v5, vcc_lo, v6, v5
	v_add_co_ci_u32_e32 v6, vcc_lo, 0, v7, vcc_lo
	s_delay_alu instid0(VALU_DEP_2) | instskip(NEXT) | instid1(VALU_DEP_2)
	v_add_co_u32 v5, vcc_lo, v11, v5
	v_add_co_ci_u32_e32 v6, vcc_lo, v12, v6, vcc_lo
	s_delay_alu instid0(VALU_DEP_2) | instskip(SKIP_1) | instid1(VALU_DEP_3)
	v_mul_hi_u32 v7, s0, v5
	v_mul_lo_u32 v9, s22, v5
	v_mul_lo_u32 v8, s0, v6
	s_delay_alu instid0(VALU_DEP_1) | instskip(SKIP_1) | instid1(VALU_DEP_2)
	v_add_nc_u32_e32 v7, v7, v8
	v_mul_lo_u32 v8, s0, v5
	v_add_nc_u32_e32 v7, v7, v9
	s_delay_alu instid0(VALU_DEP_2) | instskip(NEXT) | instid1(VALU_DEP_2)
	v_mul_hi_u32 v9, v5, v8
	v_mul_lo_u32 v10, v5, v7
	v_mul_hi_u32 v14, v5, v7
	v_mul_hi_u32 v15, v6, v8
	v_mul_lo_u32 v8, v6, v8
	v_mul_hi_u32 v16, v6, v7
	v_mul_lo_u32 v7, v6, v7
	v_add_co_u32 v9, vcc_lo, v9, v10
	v_add_co_ci_u32_e32 v10, vcc_lo, 0, v14, vcc_lo
	s_delay_alu instid0(VALU_DEP_2) | instskip(NEXT) | instid1(VALU_DEP_2)
	v_add_co_u32 v8, vcc_lo, v9, v8
	v_add_co_ci_u32_e32 v8, vcc_lo, v10, v15, vcc_lo
	v_add_co_ci_u32_e32 v9, vcc_lo, 0, v16, vcc_lo
	s_delay_alu instid0(VALU_DEP_2) | instskip(NEXT) | instid1(VALU_DEP_2)
	v_add_co_u32 v7, vcc_lo, v8, v7
	v_add_co_ci_u32_e32 v8, vcc_lo, 0, v9, vcc_lo
	s_delay_alu instid0(VALU_DEP_2) | instskip(NEXT) | instid1(VALU_DEP_2)
	v_add_co_u32 v9, vcc_lo, v5, v7
	v_add_co_ci_u32_e32 v14, vcc_lo, v6, v8, vcc_lo
	s_delay_alu instid0(VALU_DEP_2) | instskip(SKIP_1) | instid1(VALU_DEP_3)
	v_mul_hi_u32 v15, v0, v9
	v_mad_u64_u32 v[7:8], null, v1, v9, 0
	v_mad_u64_u32 v[5:6], null, v0, v14, 0
	;; [unrolled: 1-line block ×3, first 2 shown]
	s_delay_alu instid0(VALU_DEP_2) | instskip(NEXT) | instid1(VALU_DEP_3)
	v_add_co_u32 v5, vcc_lo, v15, v5
	v_add_co_ci_u32_e32 v6, vcc_lo, 0, v6, vcc_lo
	s_delay_alu instid0(VALU_DEP_2) | instskip(NEXT) | instid1(VALU_DEP_2)
	v_add_co_u32 v5, vcc_lo, v5, v7
	v_add_co_ci_u32_e32 v5, vcc_lo, v6, v8, vcc_lo
	v_add_co_ci_u32_e32 v6, vcc_lo, 0, v10, vcc_lo
	s_delay_alu instid0(VALU_DEP_2) | instskip(NEXT) | instid1(VALU_DEP_2)
	v_add_co_u32 v7, vcc_lo, v5, v9
	v_add_co_ci_u32_e32 v8, vcc_lo, 0, v6, vcc_lo
	s_delay_alu instid0(VALU_DEP_2) | instskip(SKIP_1) | instid1(VALU_DEP_3)
	v_mul_lo_u32 v9, s3, v7
	v_mad_u64_u32 v[5:6], null, s2, v7, 0
	v_mul_lo_u32 v10, s2, v8
	s_delay_alu instid0(VALU_DEP_2) | instskip(NEXT) | instid1(VALU_DEP_2)
	v_sub_co_u32 v5, vcc_lo, v0, v5
	v_add3_u32 v6, v6, v10, v9
	s_delay_alu instid0(VALU_DEP_1) | instskip(NEXT) | instid1(VALU_DEP_1)
	v_sub_nc_u32_e32 v9, v1, v6
	v_subrev_co_ci_u32_e64 v9, s0, s3, v9, vcc_lo
	v_add_co_u32 v10, s0, v7, 2
	s_delay_alu instid0(VALU_DEP_1) | instskip(SKIP_3) | instid1(VALU_DEP_3)
	v_add_co_ci_u32_e64 v14, s0, 0, v8, s0
	v_sub_co_u32 v15, s0, v5, s2
	v_sub_co_ci_u32_e32 v6, vcc_lo, v1, v6, vcc_lo
	v_subrev_co_ci_u32_e64 v9, s0, 0, v9, s0
	v_cmp_le_u32_e32 vcc_lo, s2, v15
	s_delay_alu instid0(VALU_DEP_3) | instskip(SKIP_1) | instid1(VALU_DEP_4)
	v_cmp_eq_u32_e64 s0, s3, v6
	v_cndmask_b32_e64 v15, 0, -1, vcc_lo
	v_cmp_le_u32_e32 vcc_lo, s3, v9
	v_cndmask_b32_e64 v16, 0, -1, vcc_lo
	v_cmp_le_u32_e32 vcc_lo, s2, v5
	v_cndmask_b32_e64 v5, 0, -1, vcc_lo
	v_cmp_le_u32_e32 vcc_lo, s3, v6
	v_cndmask_b32_e64 v17, 0, -1, vcc_lo
	v_cmp_eq_u32_e32 vcc_lo, s3, v9
	s_delay_alu instid0(VALU_DEP_2) | instskip(SKIP_3) | instid1(VALU_DEP_3)
	v_cndmask_b32_e64 v5, v17, v5, s0
	v_cndmask_b32_e32 v9, v16, v15, vcc_lo
	v_add_co_u32 v15, vcc_lo, v7, 1
	v_add_co_ci_u32_e32 v16, vcc_lo, 0, v8, vcc_lo
	v_cmp_ne_u32_e32 vcc_lo, 0, v9
	s_delay_alu instid0(VALU_DEP_2) | instskip(NEXT) | instid1(VALU_DEP_4)
	v_cndmask_b32_e32 v6, v16, v14, vcc_lo
	v_cndmask_b32_e32 v9, v15, v10, vcc_lo
	v_cmp_ne_u32_e32 vcc_lo, 0, v5
	s_delay_alu instid0(VALU_DEP_2)
	v_dual_cndmask_b32 v6, v8, v6 :: v_dual_cndmask_b32 v5, v7, v9
.LBB24_5:                               ;   in Loop: Header=BB24_3 Depth=1
	s_and_not1_saveexec_b32 s0, s21
; %bb.6:                                ;   in Loop: Header=BB24_3 Depth=1
	v_mul_hi_u32 v5, v0, v13
	s_delay_alu instid0(VALU_DEP_1) | instskip(NEXT) | instid1(VALU_DEP_1)
	v_mul_lo_u32 v6, v5, s2
	v_sub_nc_u32_e32 v6, v0, v6
	s_delay_alu instid0(VALU_DEP_1) | instskip(SKIP_1) | instid1(VALU_DEP_2)
	v_subrev_nc_u32_e32 v8, s2, v6
	v_cmp_le_u32_e32 vcc_lo, s2, v6
	v_dual_cndmask_b32 v6, v6, v8 :: v_dual_add_nc_u32 v7, 1, v5
	s_delay_alu instid0(VALU_DEP_1) | instskip(NEXT) | instid1(VALU_DEP_2)
	v_cndmask_b32_e32 v5, v5, v7, vcc_lo
	v_cmp_le_u32_e32 vcc_lo, s2, v6
	s_delay_alu instid0(VALU_DEP_2) | instskip(NEXT) | instid1(VALU_DEP_1)
	v_dual_mov_b32 v6, v4 :: v_dual_add_nc_u32 v7, 1, v5
	v_cndmask_b32_e32 v5, v5, v7, vcc_lo
; %bb.7:                                ;   in Loop: Header=BB24_3 Depth=1
	s_or_b32 exec_lo, exec_lo, s0
	s_delay_alu instid0(VALU_DEP_2) | instskip(NEXT) | instid1(VALU_DEP_2)
	v_mul_lo_u32 v9, v6, s2
	v_mul_lo_u32 v10, v5, s3
	v_mad_u64_u32 v[7:8], null, v5, s2, 0
	s_cmpk_lt_i32 s6, 0x7a
	s_delay_alu instid0(VALU_DEP_1) | instskip(NEXT) | instid1(VALU_DEP_2)
	v_add3_u32 v8, v8, v10, v9
	v_sub_co_u32 v7, vcc_lo, v0, v7
	s_delay_alu instid0(VALU_DEP_2)
	v_sub_co_ci_u32_e32 v8, vcc_lo, v1, v8, vcc_lo
	s_cbranch_scc1 .LBB24_10
; %bb.8:                                ;   in Loop: Header=BB24_3 Depth=1
	s_mov_b32 s0, 0
	s_cmpk_eq_i32 s6, 0x7a
	s_mov_b32 s21, 0
                                        ; implicit-def: $vgpr9_vgpr10
	s_cbranch_scc0 .LBB24_11
; %bb.9:                                ;   in Loop: Header=BB24_3 Depth=1
	v_lshlrev_b64 v[9:10], 3, v[7:8]
	s_mov_b32 s21, -1
	s_delay_alu instid0(VALU_DEP_1) | instskip(NEXT) | instid1(VALU_DEP_2)
	v_sub_co_u32 v14, vcc_lo, s1, v9
	v_sub_co_ci_u32_e32 v9, vcc_lo, s18, v10, vcc_lo
	s_delay_alu instid0(VALU_DEP_2) | instskip(NEXT) | instid1(VALU_DEP_2)
	v_cvt_f64_u32_e32 v[14:15], v14
	v_cvt_f64_u32_e32 v[9:10], v9
	s_delay_alu instid0(VALU_DEP_1) | instskip(NEXT) | instid1(VALU_DEP_1)
	v_ldexp_f64 v[9:10], v[9:10], 32
	v_add_f64 v[9:10], v[9:10], v[14:15]
	s_delay_alu instid0(VALU_DEP_1) | instskip(SKIP_1) | instid1(VALU_DEP_1)
	v_cmp_gt_f64_e32 vcc_lo, 0x10000000, v[9:10]
	v_cndmask_b32_e64 v14, 0, 1, vcc_lo
	v_lshlrev_b32_e32 v14, 8, v14
	s_delay_alu instid0(VALU_DEP_1) | instskip(NEXT) | instid1(VALU_DEP_1)
	v_ldexp_f64 v[9:10], v[9:10], v14
	v_rsq_f64_e32 v[14:15], v[9:10]
	s_waitcnt_depctr 0xfff
	v_mul_f64 v[16:17], v[9:10], v[14:15]
	v_mul_f64 v[14:15], v[14:15], 0.5
	s_delay_alu instid0(VALU_DEP_1) | instskip(NEXT) | instid1(VALU_DEP_1)
	v_fma_f64 v[18:19], -v[14:15], v[16:17], 0.5
	v_fma_f64 v[16:17], v[16:17], v[18:19], v[16:17]
	v_fma_f64 v[14:15], v[14:15], v[18:19], v[14:15]
	s_delay_alu instid0(VALU_DEP_2) | instskip(NEXT) | instid1(VALU_DEP_1)
	v_fma_f64 v[18:19], -v[16:17], v[16:17], v[9:10]
	v_fma_f64 v[16:17], v[18:19], v[14:15], v[16:17]
	s_delay_alu instid0(VALU_DEP_1) | instskip(NEXT) | instid1(VALU_DEP_1)
	v_fma_f64 v[18:19], -v[16:17], v[16:17], v[9:10]
	v_fma_f64 v[14:15], v[18:19], v[14:15], v[16:17]
	v_cndmask_b32_e64 v16, 0, 0xffffff80, vcc_lo
	v_cmp_class_f64_e64 vcc_lo, v[9:10], 0x260
	v_mul_lo_u32 v17, v5, s5
	s_delay_alu instid0(VALU_DEP_3) | instskip(SKIP_1) | instid1(VALU_DEP_2)
	v_ldexp_f64 v[14:15], v[14:15], v16
	v_mul_lo_u32 v16, v6, s4
	v_dual_cndmask_b32 v10, v15, v10 :: v_dual_cndmask_b32 v9, v14, v9
	s_delay_alu instid0(VALU_DEP_1) | instskip(NEXT) | instid1(VALU_DEP_1)
	v_fma_f64 v[9:10], v[9:10], 0.5, -0.5
	v_floor_f64_e32 v[9:10], v[9:10]
	s_delay_alu instid0(VALU_DEP_1) | instskip(NEXT) | instid1(VALU_DEP_1)
	v_add_f64 v[9:10], v[2:3], -v[9:10]
	v_trunc_f64_e32 v[9:10], v[9:10]
	s_delay_alu instid0(VALU_DEP_1) | instskip(NEXT) | instid1(VALU_DEP_1)
	v_ldexp_f64 v[14:15], v[9:10], 0xffffffe0
	v_floor_f64_e32 v[14:15], v[14:15]
	s_delay_alu instid0(VALU_DEP_1) | instskip(SKIP_1) | instid1(VALU_DEP_2)
	v_fma_f64 v[9:10], 0xc1f00000, v[14:15], v[9:10]
	v_cvt_u32_f64_e32 v15, v[14:15]
	v_cvt_u32_f64_e32 v14, v[9:10]
	v_mad_u64_u32 v[9:10], null, v5, s4, 0
	s_delay_alu instid0(VALU_DEP_3) | instskip(NEXT) | instid1(VALU_DEP_2)
	v_mul_lo_u32 v20, v15, s10
	v_add3_u32 v10, v10, v17, v16
	s_delay_alu instid0(VALU_DEP_1) | instskip(SKIP_4) | instid1(VALU_DEP_4)
	v_lshlrev_b64 v[9:10], 3, v[9:10]
	v_sub_co_u32 v22, vcc_lo, s7, v14
	v_sub_co_ci_u32_e32 v21, vcc_lo, s17, v15, vcc_lo
	v_mul_lo_u32 v23, v14, s11
	v_mad_u64_u32 v[16:17], null, v14, s10, 0
	v_add_co_u32 v24, vcc_lo, v22, -1
	s_delay_alu instid0(VALU_DEP_4) | instskip(SKIP_1) | instid1(VALU_DEP_4)
	v_add_co_ci_u32_e32 v25, vcc_lo, -1, v21, vcc_lo
	v_sub_co_u32 v18, vcc_lo, v7, s12
	v_add3_u32 v17, v17, v23, v20
	s_delay_alu instid0(VALU_DEP_3)
	v_mul_lo_u32 v23, v25, v22
	v_mul_lo_u32 v25, v24, v21
	v_mad_u64_u32 v[20:21], null, v24, v22, 0
	v_subrev_co_ci_u32_e32 v19, vcc_lo, s13, v8, vcc_lo
	v_lshlrev_b64 v[16:17], 3, v[16:17]
	v_add_co_u32 v9, vcc_lo, s14, v9
	v_add_co_ci_u32_e32 v10, vcc_lo, s16, v10, vcc_lo
	s_delay_alu instid0(VALU_DEP_4) | instskip(SKIP_1) | instid1(VALU_DEP_4)
	v_lshlrev_b64 v[18:19], 3, v[18:19]
	v_add3_u32 v21, v21, v25, v23
	v_add_co_u32 v16, vcc_lo, v9, v16
	s_delay_alu instid0(VALU_DEP_4) | instskip(NEXT) | instid1(VALU_DEP_3)
	v_add_co_ci_u32_e32 v17, vcc_lo, v10, v17, vcc_lo
	v_lshlrev_b64 v[9:10], 2, v[20:21]
	v_lshlrev_b64 v[14:15], 3, v[14:15]
	s_delay_alu instid0(VALU_DEP_4) | instskip(NEXT) | instid1(VALU_DEP_4)
	v_add_co_u32 v16, vcc_lo, v16, v18
	v_add_co_ci_u32_e32 v17, vcc_lo, v17, v19, vcc_lo
	s_delay_alu instid0(VALU_DEP_4) | instskip(NEXT) | instid1(VALU_DEP_3)
	v_and_b32_e32 v9, -8, v9
	v_add_co_u32 v14, vcc_lo, v16, v14
	s_delay_alu instid0(VALU_DEP_3) | instskip(NEXT) | instid1(VALU_DEP_2)
	v_add_co_ci_u32_e32 v15, vcc_lo, v17, v15, vcc_lo
	v_add_co_u32 v9, vcc_lo, v14, v9
	s_delay_alu instid0(VALU_DEP_2) | instskip(NEXT) | instid1(VALU_DEP_2)
	v_add_co_ci_u32_e32 v10, vcc_lo, v15, v10, vcc_lo
	v_add_co_u32 v9, vcc_lo, v9, 8
	s_delay_alu instid0(VALU_DEP_2)
	v_add_co_ci_u32_e32 v10, vcc_lo, 0, v10, vcc_lo
	s_branch .LBB24_11
.LBB24_10:                              ;   in Loop: Header=BB24_3 Depth=1
	s_mov_b32 s0, -1
	s_mov_b32 s21, 0
                                        ; implicit-def: $vgpr9_vgpr10
.LBB24_11:                              ;   in Loop: Header=BB24_3 Depth=1
	s_and_b32 vcc_lo, exec_lo, s0
	s_cbranch_vccz .LBB24_14
; %bb.12:                               ;   in Loop: Header=BB24_3 Depth=1
	s_cmpk_eq_i32 s6, 0x79
                                        ; implicit-def: $vgpr9_vgpr10
	s_cbranch_scc0 .LBB24_14
; %bb.13:                               ;   in Loop: Header=BB24_3 Depth=1
	v_lshlrev_b64 v[9:10], 3, v[7:8]
	s_mov_b32 s21, -1
	s_delay_alu instid0(VALU_DEP_1) | instskip(NEXT) | instid1(VALU_DEP_2)
	v_cvt_f64_u32_e32 v[14:15], v10
	v_or_b32_e32 v9, 1, v9
	s_delay_alu instid0(VALU_DEP_1) | instskip(NEXT) | instid1(VALU_DEP_3)
	v_cvt_f64_u32_e32 v[9:10], v9
	v_ldexp_f64 v[14:15], v[14:15], 32
	s_delay_alu instid0(VALU_DEP_1) | instskip(NEXT) | instid1(VALU_DEP_1)
	v_add_f64 v[9:10], v[14:15], v[9:10]
	v_cmp_gt_f64_e32 vcc_lo, 0x10000000, v[9:10]
	v_cndmask_b32_e64 v14, 0, 1, vcc_lo
	s_delay_alu instid0(VALU_DEP_1) | instskip(NEXT) | instid1(VALU_DEP_1)
	v_lshlrev_b32_e32 v14, 8, v14
	v_ldexp_f64 v[9:10], v[9:10], v14
	s_delay_alu instid0(VALU_DEP_1) | instskip(SKIP_3) | instid1(VALU_DEP_1)
	v_rsq_f64_e32 v[14:15], v[9:10]
	s_waitcnt_depctr 0xfff
	v_mul_f64 v[16:17], v[9:10], v[14:15]
	v_mul_f64 v[14:15], v[14:15], 0.5
	v_fma_f64 v[18:19], -v[14:15], v[16:17], 0.5
	s_delay_alu instid0(VALU_DEP_1) | instskip(SKIP_1) | instid1(VALU_DEP_2)
	v_fma_f64 v[16:17], v[16:17], v[18:19], v[16:17]
	v_fma_f64 v[14:15], v[14:15], v[18:19], v[14:15]
	v_fma_f64 v[18:19], -v[16:17], v[16:17], v[9:10]
	s_delay_alu instid0(VALU_DEP_1) | instskip(NEXT) | instid1(VALU_DEP_1)
	v_fma_f64 v[16:17], v[18:19], v[14:15], v[16:17]
	v_fma_f64 v[18:19], -v[16:17], v[16:17], v[9:10]
	s_delay_alu instid0(VALU_DEP_1) | instskip(SKIP_4) | instid1(VALU_DEP_4)
	v_fma_f64 v[14:15], v[18:19], v[14:15], v[16:17]
	v_cndmask_b32_e64 v16, 0, 0xffffff80, vcc_lo
	v_cmp_class_f64_e64 vcc_lo, v[9:10], 0x260
	v_mul_lo_u32 v17, v6, s4
	v_mul_lo_u32 v18, v5, s5
	v_ldexp_f64 v[14:15], v[14:15], v16
	s_delay_alu instid0(VALU_DEP_1) | instskip(NEXT) | instid1(VALU_DEP_1)
	v_dual_cndmask_b32 v10, v15, v10 :: v_dual_cndmask_b32 v9, v14, v9
	v_add_f64 v[9:10], v[9:10], -1.0
	s_delay_alu instid0(VALU_DEP_1) | instskip(NEXT) | instid1(VALU_DEP_1)
	v_mul_f64 v[9:10], v[9:10], 0.5
	v_trunc_f64_e32 v[9:10], v[9:10]
	s_delay_alu instid0(VALU_DEP_1) | instskip(NEXT) | instid1(VALU_DEP_1)
	v_ldexp_f64 v[14:15], v[9:10], 0xffffffe0
	v_floor_f64_e32 v[14:15], v[14:15]
	s_delay_alu instid0(VALU_DEP_1) | instskip(SKIP_1) | instid1(VALU_DEP_2)
	v_fma_f64 v[9:10], 0xc1f00000, v[14:15], v[9:10]
	v_cvt_u32_f64_e32 v15, v[14:15]
	v_cvt_u32_f64_e32 v14, v[9:10]
	v_mad_u64_u32 v[9:10], null, v5, s4, 0
	s_delay_alu instid0(VALU_DEP_3) | instskip(NEXT) | instid1(VALU_DEP_2)
	v_mul_lo_u32 v20, s10, v15
	v_add3_u32 v10, v10, v18, v17
	s_delay_alu instid0(VALU_DEP_1) | instskip(SKIP_4) | instid1(VALU_DEP_3)
	v_lshlrev_b64 v[9:10], 3, v[9:10]
	v_mad_u64_u32 v[5:6], null, v14, v14, v[14:15]
	v_mul_lo_u32 v19, v14, v15
	v_mul_lo_u32 v21, s11, v14
	v_mad_u64_u32 v[15:16], null, s10, v14, s[10:11]
	v_add3_u32 v6, v19, v6, v19
	s_delay_alu instid0(VALU_DEP_2) | instskip(NEXT) | instid1(VALU_DEP_2)
	v_add3_u32 v16, v21, v16, v20
	v_lshrrev_b64 v[5:6], 1, v[5:6]
	s_delay_alu instid0(VALU_DEP_2) | instskip(NEXT) | instid1(VALU_DEP_2)
	v_lshlrev_b64 v[14:15], 3, v[15:16]
	v_sub_co_u32 v5, vcc_lo, v7, v5
	s_delay_alu instid0(VALU_DEP_3) | instskip(SKIP_2) | instid1(VALU_DEP_3)
	v_sub_co_ci_u32_e32 v6, vcc_lo, v8, v6, vcc_lo
	v_add_co_u32 v7, vcc_lo, s14, v9
	v_add_co_ci_u32_e32 v8, vcc_lo, s16, v10, vcc_lo
	v_lshlrev_b64 v[5:6], 3, v[5:6]
	s_delay_alu instid0(VALU_DEP_3) | instskip(NEXT) | instid1(VALU_DEP_3)
	v_add_co_u32 v7, vcc_lo, v7, v14
	v_add_co_ci_u32_e32 v8, vcc_lo, v8, v15, vcc_lo
	s_delay_alu instid0(VALU_DEP_2) | instskip(NEXT) | instid1(VALU_DEP_2)
	v_add_co_u32 v9, vcc_lo, v7, v5
	v_add_co_ci_u32_e32 v10, vcc_lo, v8, v6, vcc_lo
.LBB24_14:                              ;   in Loop: Header=BB24_3 Depth=1
	s_and_b32 vcc_lo, exec_lo, s21
	s_cbranch_vccz .LBB24_2
; %bb.15:                               ;   in Loop: Header=BB24_3 Depth=1
	v_mov_b32_e32 v5, v4
	global_store_b64 v[9:10], v[4:5], off
	s_branch .LBB24_2
.LBB24_16:
	s_nop 0
	s_sendmsg sendmsg(MSG_DEALLOC_VGPRS)
	s_endpgm
	.section	.rodata,"a",@progbits
	.p2align	6, 0x0
	.amdhsa_kernel _ZL18rocblas_trtri_fillILi128E19rocblas_complex_numIfEPKPS1_EvP15_rocblas_handle13rocblas_fill_ililT1_llii
		.amdhsa_group_segment_fixed_size 0
		.amdhsa_private_segment_fixed_size 0
		.amdhsa_kernarg_size 328
		.amdhsa_user_sgpr_count 14
		.amdhsa_user_sgpr_dispatch_ptr 0
		.amdhsa_user_sgpr_queue_ptr 0
		.amdhsa_user_sgpr_kernarg_segment_ptr 1
		.amdhsa_user_sgpr_dispatch_id 0
		.amdhsa_user_sgpr_private_segment_size 0
		.amdhsa_wavefront_size32 1
		.amdhsa_uses_dynamic_stack 0
		.amdhsa_enable_private_segment 0
		.amdhsa_system_sgpr_workgroup_id_x 1
		.amdhsa_system_sgpr_workgroup_id_y 0
		.amdhsa_system_sgpr_workgroup_id_z 1
		.amdhsa_system_sgpr_workgroup_info 0
		.amdhsa_system_vgpr_workitem_id 0
		.amdhsa_next_free_vgpr 26
		.amdhsa_next_free_sgpr 23
		.amdhsa_reserve_vcc 1
		.amdhsa_float_round_mode_32 0
		.amdhsa_float_round_mode_16_64 0
		.amdhsa_float_denorm_mode_32 3
		.amdhsa_float_denorm_mode_16_64 3
		.amdhsa_dx10_clamp 1
		.amdhsa_ieee_mode 1
		.amdhsa_fp16_overflow 0
		.amdhsa_workgroup_processor_mode 1
		.amdhsa_memory_ordered 1
		.amdhsa_forward_progress 0
		.amdhsa_shared_vgpr_count 0
		.amdhsa_exception_fp_ieee_invalid_op 0
		.amdhsa_exception_fp_denorm_src 0
		.amdhsa_exception_fp_ieee_div_zero 0
		.amdhsa_exception_fp_ieee_overflow 0
		.amdhsa_exception_fp_ieee_underflow 0
		.amdhsa_exception_fp_ieee_inexact 0
		.amdhsa_exception_int_div_zero 0
	.end_amdhsa_kernel
	.section	.text._ZL18rocblas_trtri_fillILi128E19rocblas_complex_numIfEPKPS1_EvP15_rocblas_handle13rocblas_fill_ililT1_llii,"axG",@progbits,_ZL18rocblas_trtri_fillILi128E19rocblas_complex_numIfEPKPS1_EvP15_rocblas_handle13rocblas_fill_ililT1_llii,comdat
.Lfunc_end24:
	.size	_ZL18rocblas_trtri_fillILi128E19rocblas_complex_numIfEPKPS1_EvP15_rocblas_handle13rocblas_fill_ililT1_llii, .Lfunc_end24-_ZL18rocblas_trtri_fillILi128E19rocblas_complex_numIfEPKPS1_EvP15_rocblas_handle13rocblas_fill_ililT1_llii
                                        ; -- End function
	.section	.AMDGPU.csdata,"",@progbits
; Kernel info:
; codeLenInByte = 2420
; NumSgprs: 25
; NumVgprs: 26
; ScratchSize: 0
; MemoryBound: 0
; FloatMode: 240
; IeeeMode: 1
; LDSByteSize: 0 bytes/workgroup (compile time only)
; SGPRBlocks: 3
; VGPRBlocks: 3
; NumSGPRsForWavesPerEU: 25
; NumVGPRsForWavesPerEU: 26
; Occupancy: 16
; WaveLimiterHint : 0
; COMPUTE_PGM_RSRC2:SCRATCH_EN: 0
; COMPUTE_PGM_RSRC2:USER_SGPR: 14
; COMPUTE_PGM_RSRC2:TRAP_HANDLER: 0
; COMPUTE_PGM_RSRC2:TGID_X_EN: 1
; COMPUTE_PGM_RSRC2:TGID_Y_EN: 0
; COMPUTE_PGM_RSRC2:TGID_Z_EN: 1
; COMPUTE_PGM_RSRC2:TIDIG_COMP_CNT: 0
	.section	.text._ZL26rocblas_trtri_small_kernelILi16E19rocblas_complex_numIfEPKPKS1_PKPS1_Ev13rocblas_fill_17rocblas_diagonal_iT1_lillT2_lilli,"axG",@progbits,_ZL26rocblas_trtri_small_kernelILi16E19rocblas_complex_numIfEPKPKS1_PKPS1_Ev13rocblas_fill_17rocblas_diagonal_iT1_lillT2_lilli,comdat
	.globl	_ZL26rocblas_trtri_small_kernelILi16E19rocblas_complex_numIfEPKPKS1_PKPS1_Ev13rocblas_fill_17rocblas_diagonal_iT1_lillT2_lilli ; -- Begin function _ZL26rocblas_trtri_small_kernelILi16E19rocblas_complex_numIfEPKPKS1_PKPS1_Ev13rocblas_fill_17rocblas_diagonal_iT1_lillT2_lilli
	.p2align	8
	.type	_ZL26rocblas_trtri_small_kernelILi16E19rocblas_complex_numIfEPKPKS1_PKPS1_Ev13rocblas_fill_17rocblas_diagonal_iT1_lillT2_lilli,@function
_ZL26rocblas_trtri_small_kernelILi16E19rocblas_complex_numIfEPKPKS1_PKPS1_Ev13rocblas_fill_17rocblas_diagonal_iT1_lillT2_lilli: ; @_ZL26rocblas_trtri_small_kernelILi16E19rocblas_complex_numIfEPKPKS1_PKPS1_Ev13rocblas_fill_17rocblas_diagonal_iT1_lillT2_lilli
; %bb.0:
	s_load_b128 s[8:11], s[0:1], 0x0
	s_waitcnt lgkmcnt(0)
	s_cmp_lt_i32 s10, 1
	s_cbranch_scc1 .LBB25_53
; %bb.1:
	s_clause 0x1
	s_load_b128 s[16:19], s[0:1], 0x30
	s_load_b64 s[20:21], s[0:1], 0x40
	s_mov_b32 s2, s15
	s_mov_b32 s3, 0
	s_delay_alu instid0(SALU_CYCLE_1)
	s_lshl_b64 s[22:23], s[2:3], 3
	s_waitcnt lgkmcnt(0)
	s_add_u32 s2, s18, s22
	s_addc_u32 s3, s19, s23
	s_load_b64 s[12:13], s[2:3], 0x0
	v_cmp_le_u32_e64 s3, s10, v0
	v_cmp_gt_u32_e64 s2, s10, v0
	s_delay_alu instid0(VALU_DEP_1)
	s_and_saveexec_b32 s11, s2
	s_cbranch_execz .LBB25_14
; %bb.2:
	s_clause 0x1
	s_load_b128 s[4:7], s[0:1], 0x10
	s_load_b32 s18, s[0:1], 0x20
	s_waitcnt lgkmcnt(0)
	s_add_u32 s4, s4, s22
	s_addc_u32 s5, s5, s23
	s_load_b64 s[22:23], s[4:5], 0x0
	s_mul_i32 s4, s14, s17
	s_mul_hi_u32 s5, s14, s16
	s_mul_i32 s16, s14, s16
	s_add_i32 s17, s5, s4
	s_cmpk_lg_i32 s8, 0x7a
	s_mov_b32 s4, -1
	s_cbranch_scc0 .LBB25_6
; %bb.3:
	s_ashr_i32 s19, s18, 31
	s_lshl_b32 s5, s10, 3
	s_ashr_i32 s4, s10, 31
	s_add_u32 s15, s10, -1
	s_addc_u32 s4, s4, -1
	s_mul_i32 s24, s15, s19
	s_mul_hi_u32 s25, s15, s18
	s_mul_i32 s4, s4, s18
	s_add_i32 s24, s25, s24
	s_lshl_b64 s[26:27], s[16:17], 3
	s_add_i32 s25, s24, s4
	s_mul_i32 s24, s15, s18
	v_lshlrev_b32_e32 v1, 3, v0
	s_lshl_b64 s[24:25], s[24:25], 3
	s_delay_alu instid0(SALU_CYCLE_1)
	s_add_u32 s4, s24, s26
	s_addc_u32 s15, s25, s27
	s_lshl_b64 s[24:25], s[6:7], 3
	v_sub_nc_u32_e32 v2, s5, v1
	s_add_u32 s4, s4, s24
	s_addc_u32 s15, s15, s25
	s_waitcnt lgkmcnt(0)
	s_add_u32 s4, s22, s4
	s_addc_u32 s15, s23, s15
	v_add_co_u32 v1, s4, s4, v1
	v_add_nc_u32_e32 v3, -8, v2
	s_lshl_b64 s[24:25], s[18:19], 3
	v_add_co_ci_u32_e64 v2, null, s15, 0, s4
	s_sub_u32 s15, 0, s24
	s_subb_u32 s24, 0, s25
	s_mov_b32 s19, 0
	s_mov_b32 s25, s10
.LBB25_4:                               ; =>This Inner Loop Header: Depth=1
	global_load_b64 v[4:5], v[1:2], off
	s_add_i32 s25, s25, -1
	v_add_co_u32 v1, vcc_lo, v1, s15
	v_cmp_le_i32_e64 s4, s25, v0
	v_add_co_ci_u32_e32 v2, vcc_lo, s24, v2, vcc_lo
	s_delay_alu instid0(VALU_DEP_2)
	s_or_b32 s19, s4, s19
	s_waitcnt vmcnt(0)
	ds_store_b64 v3, v[4:5]
	v_add_nc_u32_e32 v3, s5, v3
	s_and_not1_b32 exec_lo, exec_lo, s19
	s_cbranch_execnz .LBB25_4
; %bb.5:
	s_or_b32 exec_lo, exec_lo, s19
	s_mov_b32 s4, 0
.LBB25_6:
	s_delay_alu instid0(SALU_CYCLE_1)
	s_and_b32 vcc_lo, exec_lo, s4
	s_cbranch_vccz .LBB25_14
; %bb.7:
	v_dual_mov_b32 v3, 0 :: v_dual_add_nc_u32 v4, 1, v0
	s_ashr_i32 s19, s18, 31
	s_mov_b32 s5, exec_lo
	v_cmpx_lt_u32_e32 2, v0
	s_cbranch_execz .LBB25_11
; %bb.8:
	s_lshl_b64 s[24:25], s[6:7], 3
	v_lshlrev_b32_e32 v5, 3, v0
	s_waitcnt lgkmcnt(0)
	s_add_u32 s4, s22, s24
	s_addc_u32 s15, s23, s25
	s_lshl_b64 s[24:25], s[16:17], 3
	v_and_b32_e32 v3, 28, v4
	s_add_u32 s4, s4, s24
	s_addc_u32 s15, s15, s25
	v_add_co_u32 v1, s4, s4, v5
	s_delay_alu instid0(VALU_DEP_1)
	v_add_co_ci_u32_e64 v2, null, s15, 0, s4
	s_mul_hi_i32 s15, s18, 24
	s_mul_i32 s30, s18, 24
	s_lshl_b64 s[24:25], s[18:19], 5
	s_lshl_b64 s[26:27], s[18:19], 4
	;; [unrolled: 1-line block ×3, first 2 shown]
	s_lshl_b32 s31, s10, 3
	s_lshl_b32 s33, s10, 5
	s_lshl_b32 s34, s10, 4
	s_mul_i32 s36, s10, 24
	s_mov_b32 s35, 0
	s_mov_b32 s37, 0
	s_set_inst_prefetch_distance 0x1
	.p2align	6
.LBB25_9:                               ; =>This Inner Loop Header: Depth=1
	v_add_co_u32 v6, vcc_lo, v1, s28
	v_add_co_ci_u32_e32 v7, vcc_lo, s29, v2, vcc_lo
	v_add_co_u32 v8, vcc_lo, v1, s26
	v_add_co_ci_u32_e32 v9, vcc_lo, s27, v2, vcc_lo
	;; [unrolled: 2-line block ×3, first 2 shown]
	s_clause 0x3
	global_load_b64 v[12:13], v[1:2], off
	global_load_b64 v[6:7], v[6:7], off
	;; [unrolled: 1-line block ×4, first 2 shown]
	s_add_i32 s37, s37, 4
	v_add_co_u32 v1, s4, v1, s24
	v_cmp_eq_u32_e32 vcc_lo, s37, v3
	v_add_nc_u32_e32 v14, s31, v5
	v_add_nc_u32_e32 v15, s34, v5
	;; [unrolled: 1-line block ×3, first 2 shown]
	v_add_co_ci_u32_e64 v2, s4, s25, v2, s4
	s_or_b32 s35, vcc_lo, s35
	s_waitcnt vmcnt(3)
	ds_store_b64 v5, v[12:13]
	v_add_nc_u32_e32 v5, s33, v5
	s_waitcnt vmcnt(2)
	ds_store_b64 v14, v[6:7]
	s_waitcnt vmcnt(1)
	ds_store_b64 v15, v[8:9]
	;; [unrolled: 2-line block ×3, first 2 shown]
	s_and_not1_b32 exec_lo, exec_lo, s35
	s_cbranch_execnz .LBB25_9
; %bb.10:
	s_set_inst_prefetch_distance 0x2
	s_or_b32 exec_lo, exec_lo, s35
.LBB25_11:
	s_delay_alu instid0(SALU_CYCLE_1) | instskip(SKIP_2) | instid1(VALU_DEP_1)
	s_or_b32 exec_lo, exec_lo, s5
	v_and_b32_e32 v4, 3, v4
	s_mov_b32 s5, 0
	v_cmp_ne_u32_e32 vcc_lo, 0, v4
	s_and_b32 exec_lo, exec_lo, vcc_lo
	s_cbranch_execz .LBB25_14
; %bb.12:
	v_mad_i64_i32 v[1:2], null, s18, v3, 0
	s_lshl_b64 s[16:17], s[16:17], 3
	s_lshl_b64 s[6:7], s[6:7], 3
	s_lshl_b32 s15, s10, 3
	s_add_u32 s4, s6, s16
	v_lshlrev_b32_e32 v5, 3, v0
	s_addc_u32 s6, s7, s17
	s_delay_alu instid0(VALU_DEP_2) | instskip(SKIP_1) | instid1(VALU_DEP_2)
	v_lshlrev_b64 v[1:2], 3, v[1:2]
	v_mul_lo_u32 v3, v3, s10
	v_add_co_u32 v1, vcc_lo, s4, v1
	s_delay_alu instid0(VALU_DEP_3) | instskip(NEXT) | instid1(VALU_DEP_3)
	v_add_co_ci_u32_e32 v2, vcc_lo, s6, v2, vcc_lo
	v_add_lshl_u32 v3, v0, v3, 3
	s_delay_alu instid0(VALU_DEP_3) | instskip(NEXT) | instid1(VALU_DEP_3)
	v_add_co_u32 v1, vcc_lo, v1, v5
	v_add_co_ci_u32_e32 v2, vcc_lo, 0, v2, vcc_lo
	s_lshl_b64 s[6:7], s[18:19], 3
	s_waitcnt lgkmcnt(0)
	s_delay_alu instid0(VALU_DEP_2) | instskip(NEXT) | instid1(VALU_DEP_2)
	v_add_co_u32 v1, vcc_lo, s22, v1
	v_add_co_ci_u32_e32 v2, vcc_lo, s23, v2, vcc_lo
.LBB25_13:                              ; =>This Inner Loop Header: Depth=1
	global_load_b64 v[5:6], v[1:2], off
	v_add_nc_u32_e32 v4, -1, v4
	v_add_co_u32 v1, vcc_lo, v1, s6
	v_add_co_ci_u32_e32 v2, vcc_lo, s7, v2, vcc_lo
	s_delay_alu instid0(VALU_DEP_3) | instskip(NEXT) | instid1(VALU_DEP_1)
	v_cmp_eq_u32_e64 s4, 0, v4
	s_or_b32 s5, s4, s5
	s_waitcnt vmcnt(0)
	ds_store_b64 v3, v[5:6]
	v_add_nc_u32_e32 v3, s15, v3
	s_and_not1_b32 exec_lo, exec_lo, s5
	s_cbranch_execnz .LBB25_13
.LBB25_14:
	s_or_b32 exec_lo, exec_lo, s11
	s_waitcnt vmcnt(0) lgkmcnt(0)
	s_waitcnt_vscnt null, 0x0
	; wave barrier
	s_waitcnt lgkmcnt(0)
	buffer_gl0_inv
                                        ; implicit-def: $vgpr1
	s_and_saveexec_b32 s4, s3
	s_delay_alu instid0(SALU_CYCLE_1)
	s_xor_b32 s3, exec_lo, s4
; %bb.15:
	v_mad_u64_u32 v[1:2], null, v0, s10, v[0:1]
; %bb.16:
	s_and_not1_saveexec_b32 s4, s3
	s_cbranch_execz .LBB25_29
; %bb.17:
	s_delay_alu instid0(VALU_DEP_1) | instskip(SKIP_1) | instid1(VALU_DEP_1)
	v_mad_u64_u32 v[1:2], null, v0, s10, v[0:1]
	s_cmpk_lg_i32 s9, 0x84
	v_lshlrev_b32_e32 v6, 3, v1
	s_cbranch_scc0 .LBB25_27
; %bb.18:
	ds_load_b64 v[2:3], v6
	s_waitcnt lgkmcnt(0)
	v_cmp_neq_f32_e32 vcc_lo, 0, v2
	v_cmp_neq_f32_e64 s3, 0, v3
	s_delay_alu instid0(VALU_DEP_1) | instskip(NEXT) | instid1(SALU_CYCLE_1)
	s_or_b32 s3, vcc_lo, s3
	s_and_saveexec_b32 s5, s3
	s_delay_alu instid0(SALU_CYCLE_1)
	s_xor_b32 s3, exec_lo, s5
	s_cbranch_execz .LBB25_24
; %bb.19:
	v_cmp_gt_f32_e32 vcc_lo, 0, v2
	v_cndmask_b32_e64 v4, v2, -v2, vcc_lo
	v_cmp_gt_f32_e32 vcc_lo, 0, v3
	v_cndmask_b32_e64 v5, v3, -v3, vcc_lo
	s_delay_alu instid0(VALU_DEP_1) | instskip(SKIP_1) | instid1(SALU_CYCLE_1)
	v_cmp_ngt_f32_e32 vcc_lo, v4, v5
                                        ; implicit-def: $vgpr4
	s_and_saveexec_b32 s5, vcc_lo
	s_xor_b32 s5, exec_lo, s5
	s_cbranch_execz .LBB25_21
; %bb.20:
	v_div_scale_f32 v4, null, v3, v3, v2
	v_div_scale_f32 v8, vcc_lo, v2, v3, v2
	s_delay_alu instid0(VALU_DEP_2) | instskip(SKIP_2) | instid1(VALU_DEP_1)
	v_rcp_f32_e32 v5, v4
	s_waitcnt_depctr 0xfff
	v_fma_f32 v7, -v4, v5, 1.0
	v_fmac_f32_e32 v5, v7, v5
	s_delay_alu instid0(VALU_DEP_1) | instskip(NEXT) | instid1(VALU_DEP_1)
	v_mul_f32_e32 v7, v8, v5
	v_fma_f32 v9, -v4, v7, v8
	s_delay_alu instid0(VALU_DEP_1) | instskip(NEXT) | instid1(VALU_DEP_1)
	v_fmac_f32_e32 v7, v9, v5
	v_fma_f32 v4, -v4, v7, v8
	s_delay_alu instid0(VALU_DEP_1) | instskip(NEXT) | instid1(VALU_DEP_1)
	v_div_fmas_f32 v4, v4, v5, v7
	v_div_fixup_f32 v4, v4, v3, v2
	s_delay_alu instid0(VALU_DEP_1) | instskip(NEXT) | instid1(VALU_DEP_1)
	v_fmac_f32_e32 v3, v2, v4
	v_div_scale_f32 v2, null, v3, v3, 1.0
	v_div_scale_f32 v8, vcc_lo, 1.0, v3, 1.0
	s_delay_alu instid0(VALU_DEP_2) | instskip(SKIP_2) | instid1(VALU_DEP_1)
	v_rcp_f32_e32 v5, v2
	s_waitcnt_depctr 0xfff
	v_fma_f32 v7, -v2, v5, 1.0
	v_fmac_f32_e32 v5, v7, v5
	s_delay_alu instid0(VALU_DEP_1) | instskip(NEXT) | instid1(VALU_DEP_1)
	v_mul_f32_e32 v7, v8, v5
	v_fma_f32 v9, -v2, v7, v8
	s_delay_alu instid0(VALU_DEP_1) | instskip(NEXT) | instid1(VALU_DEP_1)
	v_fmac_f32_e32 v7, v9, v5
	v_fma_f32 v2, -v2, v7, v8
	s_delay_alu instid0(VALU_DEP_1) | instskip(NEXT) | instid1(VALU_DEP_1)
	v_div_fmas_f32 v2, v2, v5, v7
	v_div_fixup_f32 v2, v2, v3, 1.0
	s_delay_alu instid0(VALU_DEP_1)
	v_mul_f32_e32 v4, v4, v2
	v_xor_b32_e32 v5, 0x80000000, v2
                                        ; implicit-def: $vgpr2_vgpr3
.LBB25_21:
	s_and_not1_saveexec_b32 s5, s5
	s_cbranch_execz .LBB25_23
; %bb.22:
	v_div_scale_f32 v4, null, v2, v2, v3
	v_div_scale_f32 v8, vcc_lo, v3, v2, v3
	s_delay_alu instid0(VALU_DEP_2) | instskip(SKIP_2) | instid1(VALU_DEP_1)
	v_rcp_f32_e32 v5, v4
	s_waitcnt_depctr 0xfff
	v_fma_f32 v7, -v4, v5, 1.0
	v_fmac_f32_e32 v5, v7, v5
	s_delay_alu instid0(VALU_DEP_1) | instskip(NEXT) | instid1(VALU_DEP_1)
	v_mul_f32_e32 v7, v8, v5
	v_fma_f32 v9, -v4, v7, v8
	s_delay_alu instid0(VALU_DEP_1) | instskip(NEXT) | instid1(VALU_DEP_1)
	v_fmac_f32_e32 v7, v9, v5
	v_fma_f32 v4, -v4, v7, v8
	s_delay_alu instid0(VALU_DEP_1) | instskip(NEXT) | instid1(VALU_DEP_1)
	v_div_fmas_f32 v4, v4, v5, v7
	v_div_fixup_f32 v5, v4, v2, v3
	s_delay_alu instid0(VALU_DEP_1) | instskip(NEXT) | instid1(VALU_DEP_1)
	v_fmac_f32_e32 v2, v3, v5
	v_div_scale_f32 v3, null, v2, v2, 1.0
	s_delay_alu instid0(VALU_DEP_1) | instskip(SKIP_2) | instid1(VALU_DEP_1)
	v_rcp_f32_e32 v4, v3
	s_waitcnt_depctr 0xfff
	v_fma_f32 v7, -v3, v4, 1.0
	v_fmac_f32_e32 v4, v7, v4
	v_div_scale_f32 v7, vcc_lo, 1.0, v2, 1.0
	s_delay_alu instid0(VALU_DEP_1) | instskip(NEXT) | instid1(VALU_DEP_1)
	v_mul_f32_e32 v8, v7, v4
	v_fma_f32 v9, -v3, v8, v7
	s_delay_alu instid0(VALU_DEP_1) | instskip(NEXT) | instid1(VALU_DEP_1)
	v_fmac_f32_e32 v8, v9, v4
	v_fma_f32 v3, -v3, v8, v7
	s_delay_alu instid0(VALU_DEP_1) | instskip(NEXT) | instid1(VALU_DEP_1)
	v_div_fmas_f32 v3, v3, v4, v8
	v_div_fixup_f32 v4, v3, v2, 1.0
	s_delay_alu instid0(VALU_DEP_1)
	v_mul_f32_e64 v5, v5, -v4
.LBB25_23:
	s_or_b32 exec_lo, exec_lo, s5
	ds_store_b64 v6, v[4:5]
.LBB25_24:
	s_and_not1_saveexec_b32 s3, s3
	s_cbranch_execz .LBB25_26
; %bb.25:
	v_dual_mov_b32 v2, 1.0 :: v_dual_mov_b32 v3, 0
	ds_store_b64 v6, v[2:3]
.LBB25_26:
	s_or_b32 exec_lo, exec_lo, s3
	s_cbranch_execz .LBB25_28
	s_branch .LBB25_29
.LBB25_27:
.LBB25_28:
	v_dual_mov_b32 v2, 1.0 :: v_dual_mov_b32 v3, 0
	ds_store_b64 v6, v[2:3]
.LBB25_29:
	s_or_b32 exec_lo, exec_lo, s4
	s_delay_alu instid0(VALU_DEP_1)
	v_lshlrev_b32_e32 v1, 3, v1
	v_add_lshl_u32 v2, v0, s10, 3
	s_lshl_b32 s11, s10, 3
	s_mov_b32 s3, 8
	s_add_i32 s4, s11, 8
	s_mov_b32 s5, 0
	s_waitcnt vmcnt(0) lgkmcnt(0)
	s_waitcnt_vscnt null, 0x0
	; wave barrier
	s_waitcnt lgkmcnt(0)
	buffer_gl0_inv
	s_branch .LBB25_31
.LBB25_30:                              ;   in Loop: Header=BB25_31 Depth=1
	s_set_inst_prefetch_distance 0x2
	v_add_nc_u32_e32 v2, s11, v2
	s_add_i32 s3, s3, s4
	s_cmp_eq_u32 s5, s10
	s_waitcnt vmcnt(0) lgkmcnt(0)
	s_waitcnt_vscnt null, 0x0
	; wave barrier
	buffer_gl0_inv
	s_cbranch_scc1 .LBB25_40
.LBB25_31:                              ; =>This Loop Header: Depth=1
                                        ;     Child Loop BB25_36 Depth 2
	s_mul_i32 s7, s5, s10
	v_dual_mov_b32 v4, 0 :: v_dual_mov_b32 v5, 0
	v_add_lshl_u32 v3, s7, v0, 3
	s_mov_b32 s6, exec_lo
	v_cmpx_lt_u32_e64 s5, v0
	s_cbranch_execz .LBB25_33
; %bb.32:                               ;   in Loop: Header=BB25_31 Depth=1
	s_add_i32 s7, s7, s5
	s_delay_alu instid0(SALU_CYCLE_1) | instskip(NEXT) | instid1(SALU_CYCLE_1)
	s_lshl_b32 s7, s7, 3
	v_mov_b32_e32 v6, s7
	ds_load_b64 v[4:5], v3
	ds_load_b64 v[6:7], v6
	s_waitcnt lgkmcnt(0)
	v_mul_f32_e32 v8, v7, v5
	v_mul_f32_e32 v5, v6, v5
	s_delay_alu instid0(VALU_DEP_2) | instskip(NEXT) | instid1(VALU_DEP_1)
	v_fma_f32 v6, v6, v4, -v8
	v_dual_fmac_f32 v5, v7, v4 :: v_dual_add_f32 v4, 0, v6
	s_delay_alu instid0(VALU_DEP_1)
	v_add_f32_e32 v5, 0, v5
.LBB25_33:                              ;   in Loop: Header=BB25_31 Depth=1
	s_or_b32 exec_lo, exec_lo, s6
	s_add_i32 s5, s5, 1
	s_delay_alu instid0(SALU_CYCLE_1)
	s_cmp_ge_i32 s5, s10
	; wave barrier
	buffer_gl0_inv
	s_cbranch_scc1 .LBB25_30
; %bb.34:                               ;   in Loop: Header=BB25_31 Depth=1
	v_mov_b32_e32 v6, v2
	s_mov_b32 s6, s3
	s_mov_b32 s7, s5
	s_set_inst_prefetch_distance 0x1
	s_branch .LBB25_36
	.p2align	6
.LBB25_35:                              ;   in Loop: Header=BB25_36 Depth=2
	s_or_b32 exec_lo, exec_lo, s9
	v_add_nc_u32_e32 v6, s11, v6
	s_add_i32 s7, s7, 1
	s_add_i32 s6, s6, 8
	s_cmp_ge_i32 s7, s10
	s_waitcnt vmcnt(0) lgkmcnt(0)
	s_waitcnt_vscnt null, 0x0
	; wave barrier
	buffer_gl0_inv
	s_cbranch_scc1 .LBB25_30
.LBB25_36:                              ;   Parent Loop BB25_31 Depth=1
                                        ; =>  This Inner Loop Header: Depth=2
	s_mov_b32 s9, exec_lo
	v_cmpx_eq_u32_e64 s7, v0
	s_cbranch_execz .LBB25_38
; %bb.37:                               ;   in Loop: Header=BB25_36 Depth=2
	ds_load_b64 v[7:8], v1
	s_waitcnt lgkmcnt(0)
	v_dual_sub_f32 v10, 0, v4 :: v_dual_mul_f32 v11, v5, v7
	v_mul_f32_e32 v9, v5, v8
	s_delay_alu instid0(VALU_DEP_1) | instskip(NEXT) | instid1(VALU_DEP_3)
	v_fmac_f32_e32 v9, v10, v7
	v_fma_f32 v10, -v4, v8, -v11
	ds_store_b64 v3, v[9:10]
.LBB25_38:                              ;   in Loop: Header=BB25_36 Depth=2
	s_or_b32 exec_lo, exec_lo, s9
	s_delay_alu instid0(SALU_CYCLE_1)
	s_mov_b32 s9, exec_lo
	s_waitcnt vmcnt(0) lgkmcnt(0)
	s_waitcnt_vscnt null, 0x0
	; wave barrier
	s_waitcnt lgkmcnt(0)
	buffer_gl0_inv
	v_cmpx_lt_u32_e64 s7, v0
	s_cbranch_execz .LBB25_35
; %bb.39:                               ;   in Loop: Header=BB25_36 Depth=2
	v_mov_b32_e32 v9, s6
	ds_load_b64 v[7:8], v6
	ds_load_b64 v[9:10], v9
	s_waitcnt lgkmcnt(0)
	v_mul_f32_e32 v11, v10, v8
	v_mul_f32_e32 v8, v9, v8
	s_delay_alu instid0(VALU_DEP_2) | instskip(NEXT) | instid1(VALU_DEP_2)
	v_fma_f32 v9, v9, v7, -v11
	v_fmac_f32_e32 v8, v10, v7
	s_delay_alu instid0(VALU_DEP_1)
	v_dual_add_f32 v4, v4, v9 :: v_dual_add_f32 v5, v5, v8
	s_branch .LBB25_35
.LBB25_40:
	s_and_saveexec_b32 s3, s2
	s_cbranch_execz .LBB25_53
; %bb.41:
	s_clause 0x1
	s_load_b64 s[4:5], s[0:1], 0x58
	s_load_b32 s2, s[0:1], 0x48
	v_lshlrev_b32_e32 v3, 3, v0
	s_waitcnt lgkmcnt(0)
	s_mul_i32 s0, s14, s5
	s_mul_hi_u32 s1, s14, s4
	s_mul_i32 s4, s14, s4
	s_add_i32 s5, s1, s0
	s_cmpk_lg_i32 s8, 0x7a
	s_mov_b32 s0, -1
	s_cbranch_scc0 .LBB25_45
; %bb.42:
	s_add_i32 s0, s10, -1
	s_ashr_i32 s3, s2, 31
	s_mul_hi_u32 s6, s2, s0
	s_mul_i32 s1, s3, s0
	s_mul_i32 s0, s2, s0
	s_add_i32 s1, s6, s1
	s_lshl_b64 s[6:7], s[4:5], 3
	s_lshl_b64 s[0:1], s[0:1], 3
	v_lshlrev_b32_e32 v1, 3, v0
	s_add_u32 s6, s6, s0
	s_addc_u32 s7, s7, s1
	s_lshl_b64 s[0:1], s[20:21], 3
	s_delay_alu instid0(SALU_CYCLE_1)
	s_add_u32 s0, s6, s0
	s_addc_u32 s1, s7, s1
	v_sub_nc_u32_e32 v4, s11, v1
	s_add_u32 s0, s12, s0
	s_addc_u32 s1, s13, s1
	v_add_co_u32 v1, s0, s0, v1
	s_lshl_b64 s[6:7], s[2:3], 3
	v_add_co_ci_u32_e64 v2, null, s1, 0, s0
	v_add_nc_u32_e32 v4, -8, v4
	s_sub_u32 s1, 0, s6
	s_subb_u32 s6, 0, s7
	s_mov_b32 s3, 0
	s_mov_b32 s7, s10
.LBB25_43:                              ; =>This Inner Loop Header: Depth=1
	ds_load_b64 v[5:6], v4
	s_add_i32 s7, s7, -1
	v_add_nc_u32_e32 v4, s11, v4
	v_cmp_le_i32_e32 vcc_lo, s7, v0
	s_or_b32 s3, vcc_lo, s3
	s_waitcnt lgkmcnt(0)
	global_store_b64 v[1:2], v[5:6], off
	v_add_co_u32 v1, s0, v1, s1
	s_delay_alu instid0(VALU_DEP_1)
	v_add_co_ci_u32_e64 v2, s0, s6, v2, s0
	s_and_not1_b32 exec_lo, exec_lo, s3
	s_cbranch_execnz .LBB25_43
; %bb.44:
	s_or_b32 exec_lo, exec_lo, s3
	s_mov_b32 s0, 0
.LBB25_45:
	s_delay_alu instid0(SALU_CYCLE_1)
	s_and_b32 vcc_lo, exec_lo, s0
	s_cbranch_vccz .LBB25_53
; %bb.46:
	v_dual_mov_b32 v4, 0 :: v_dual_add_nc_u32 v5, 1, v0
	s_ashr_i32 s3, s2, 31
	s_mov_b32 s1, exec_lo
	v_cmpx_lt_u32_e32 2, v0
	s_cbranch_execz .LBB25_50
; %bb.47:
	s_lshl_b64 s[6:7], s[20:21], 3
	v_and_b32_e32 v4, 28, v5
	s_add_u32 s0, s12, s6
	s_addc_u32 s8, s13, s7
	s_lshl_b64 s[6:7], s[4:5], 3
	v_mov_b32_e32 v6, v3
	s_add_u32 s0, s0, s6
	s_addc_u32 s6, s8, s7
	v_add_co_u32 v1, s0, s0, v3
	s_delay_alu instid0(VALU_DEP_1)
	v_add_co_ci_u32_e64 v2, null, s6, 0, s0
	s_mul_hi_i32 s16, s2, 24
	s_mul_i32 s17, s2, 24
	s_lshl_b64 s[6:7], s[2:3], 5
	s_lshl_b64 s[8:9], s[2:3], 4
	;; [unrolled: 1-line block ×3, first 2 shown]
	s_lshl_b32 s18, s10, 5
	s_lshl_b32 s19, s10, 4
	s_mul_i32 s23, s10, 24
	s_mov_b32 s22, 0
	s_mov_b32 s24, 0
	s_set_inst_prefetch_distance 0x1
	.p2align	6
.LBB25_48:                              ; =>This Inner Loop Header: Depth=1
	ds_load_b64 v[7:8], v6
	v_add_nc_u32_e32 v11, s11, v6
	v_add_nc_u32_e32 v13, s19, v6
	;; [unrolled: 1-line block ×3, first 2 shown]
	v_add_co_u32 v9, vcc_lo, v1, s14
	ds_load_b64 v[11:12], v11
	ds_load_b64 v[13:14], v13
	;; [unrolled: 1-line block ×3, first 2 shown]
	v_add_co_ci_u32_e32 v10, vcc_lo, s15, v2, vcc_lo
	v_add_co_u32 v17, vcc_lo, v1, s8
	v_add_co_ci_u32_e32 v18, vcc_lo, s9, v2, vcc_lo
	v_add_co_u32 v19, vcc_lo, v1, s17
	s_add_i32 s24, s24, 4
	v_add_co_ci_u32_e32 v20, vcc_lo, s16, v2, vcc_lo
	v_cmp_eq_u32_e32 vcc_lo, s24, v4
	v_add_nc_u32_e32 v6, s18, v6
	s_waitcnt lgkmcnt(3)
	global_store_b64 v[1:2], v[7:8], off
	v_add_co_u32 v1, s0, v1, s6
	s_delay_alu instid0(VALU_DEP_1)
	v_add_co_ci_u32_e64 v2, s0, s7, v2, s0
	s_or_b32 s22, vcc_lo, s22
	s_waitcnt lgkmcnt(2)
	global_store_b64 v[9:10], v[11:12], off
	s_waitcnt lgkmcnt(1)
	global_store_b64 v[17:18], v[13:14], off
	;; [unrolled: 2-line block ×3, first 2 shown]
	s_and_not1_b32 exec_lo, exec_lo, s22
	s_cbranch_execnz .LBB25_48
; %bb.49:
	s_set_inst_prefetch_distance 0x2
	s_or_b32 exec_lo, exec_lo, s22
.LBB25_50:
	s_delay_alu instid0(SALU_CYCLE_1) | instskip(SKIP_2) | instid1(VALU_DEP_1)
	s_or_b32 exec_lo, exec_lo, s1
	v_and_b32_e32 v5, 3, v5
	s_mov_b32 s1, 0
	v_cmp_ne_u32_e32 vcc_lo, 0, v5
	s_and_b32 exec_lo, exec_lo, vcc_lo
	s_cbranch_execz .LBB25_53
; %bb.51:
	v_mad_i64_i32 v[1:2], null, s2, v4, 0
	s_lshl_b64 s[4:5], s[4:5], 3
	s_lshl_b64 s[6:7], s[20:21], 3
	v_mul_lo_u32 v4, v4, s10
	s_add_u32 s0, s6, s4
	s_addc_u32 s4, s7, s5
	s_lshl_b64 s[2:3], s[2:3], 3
	s_delay_alu instid0(VALU_DEP_2) | instskip(NEXT) | instid1(VALU_DEP_2)
	v_lshlrev_b64 v[1:2], 3, v[1:2]
	v_add_lshl_u32 v0, v0, v4, 3
	s_delay_alu instid0(VALU_DEP_2) | instskip(NEXT) | instid1(VALU_DEP_3)
	v_add_co_u32 v1, vcc_lo, s0, v1
	v_add_co_ci_u32_e32 v2, vcc_lo, s4, v2, vcc_lo
	s_delay_alu instid0(VALU_DEP_2) | instskip(NEXT) | instid1(VALU_DEP_2)
	v_add_co_u32 v1, vcc_lo, v1, v3
	v_add_co_ci_u32_e32 v2, vcc_lo, 0, v2, vcc_lo
	s_delay_alu instid0(VALU_DEP_2) | instskip(NEXT) | instid1(VALU_DEP_2)
	v_add_co_u32 v1, vcc_lo, s12, v1
	v_add_co_ci_u32_e32 v2, vcc_lo, s13, v2, vcc_lo
.LBB25_52:                              ; =>This Inner Loop Header: Depth=1
	ds_load_b64 v[3:4], v0
	v_add_nc_u32_e32 v5, -1, v5
	v_add_nc_u32_e32 v0, s11, v0
	s_delay_alu instid0(VALU_DEP_2) | instskip(SKIP_4) | instid1(VALU_DEP_1)
	v_cmp_eq_u32_e32 vcc_lo, 0, v5
	s_or_b32 s1, vcc_lo, s1
	s_waitcnt lgkmcnt(0)
	global_store_b64 v[1:2], v[3:4], off
	v_add_co_u32 v1, s0, v1, s2
	v_add_co_ci_u32_e64 v2, s0, s3, v2, s0
	s_and_not1_b32 exec_lo, exec_lo, s1
	s_cbranch_execnz .LBB25_52
.LBB25_53:
	s_nop 0
	s_sendmsg sendmsg(MSG_DEALLOC_VGPRS)
	s_endpgm
	.section	.rodata,"a",@progbits
	.p2align	6, 0x0
	.amdhsa_kernel _ZL26rocblas_trtri_small_kernelILi16E19rocblas_complex_numIfEPKPKS1_PKPS1_Ev13rocblas_fill_17rocblas_diagonal_iT1_lillT2_lilli
		.amdhsa_group_segment_fixed_size 2048
		.amdhsa_private_segment_fixed_size 0
		.amdhsa_kernarg_size 100
		.amdhsa_user_sgpr_count 14
		.amdhsa_user_sgpr_dispatch_ptr 0
		.amdhsa_user_sgpr_queue_ptr 0
		.amdhsa_user_sgpr_kernarg_segment_ptr 1
		.amdhsa_user_sgpr_dispatch_id 0
		.amdhsa_user_sgpr_private_segment_size 0
		.amdhsa_wavefront_size32 1
		.amdhsa_uses_dynamic_stack 0
		.amdhsa_enable_private_segment 0
		.amdhsa_system_sgpr_workgroup_id_x 1
		.amdhsa_system_sgpr_workgroup_id_y 0
		.amdhsa_system_sgpr_workgroup_id_z 1
		.amdhsa_system_sgpr_workgroup_info 0
		.amdhsa_system_vgpr_workitem_id 0
		.amdhsa_next_free_vgpr 21
		.amdhsa_next_free_sgpr 38
		.amdhsa_reserve_vcc 1
		.amdhsa_float_round_mode_32 0
		.amdhsa_float_round_mode_16_64 0
		.amdhsa_float_denorm_mode_32 3
		.amdhsa_float_denorm_mode_16_64 3
		.amdhsa_dx10_clamp 1
		.amdhsa_ieee_mode 1
		.amdhsa_fp16_overflow 0
		.amdhsa_workgroup_processor_mode 1
		.amdhsa_memory_ordered 1
		.amdhsa_forward_progress 0
		.amdhsa_shared_vgpr_count 0
		.amdhsa_exception_fp_ieee_invalid_op 0
		.amdhsa_exception_fp_denorm_src 0
		.amdhsa_exception_fp_ieee_div_zero 0
		.amdhsa_exception_fp_ieee_overflow 0
		.amdhsa_exception_fp_ieee_underflow 0
		.amdhsa_exception_fp_ieee_inexact 0
		.amdhsa_exception_int_div_zero 0
	.end_amdhsa_kernel
	.section	.text._ZL26rocblas_trtri_small_kernelILi16E19rocblas_complex_numIfEPKPKS1_PKPS1_Ev13rocblas_fill_17rocblas_diagonal_iT1_lillT2_lilli,"axG",@progbits,_ZL26rocblas_trtri_small_kernelILi16E19rocblas_complex_numIfEPKPKS1_PKPS1_Ev13rocblas_fill_17rocblas_diagonal_iT1_lillT2_lilli,comdat
.Lfunc_end25:
	.size	_ZL26rocblas_trtri_small_kernelILi16E19rocblas_complex_numIfEPKPKS1_PKPS1_Ev13rocblas_fill_17rocblas_diagonal_iT1_lillT2_lilli, .Lfunc_end25-_ZL26rocblas_trtri_small_kernelILi16E19rocblas_complex_numIfEPKPKS1_PKPS1_Ev13rocblas_fill_17rocblas_diagonal_iT1_lillT2_lilli
                                        ; -- End function
	.section	.AMDGPU.csdata,"",@progbits
; Kernel info:
; codeLenInByte = 2792
; NumSgprs: 40
; NumVgprs: 21
; ScratchSize: 0
; MemoryBound: 0
; FloatMode: 240
; IeeeMode: 1
; LDSByteSize: 2048 bytes/workgroup (compile time only)
; SGPRBlocks: 4
; VGPRBlocks: 2
; NumSGPRsForWavesPerEU: 40
; NumVGPRsForWavesPerEU: 21
; Occupancy: 16
; WaveLimiterHint : 0
; COMPUTE_PGM_RSRC2:SCRATCH_EN: 0
; COMPUTE_PGM_RSRC2:USER_SGPR: 14
; COMPUTE_PGM_RSRC2:TRAP_HANDLER: 0
; COMPUTE_PGM_RSRC2:TGID_X_EN: 1
; COMPUTE_PGM_RSRC2:TGID_Y_EN: 0
; COMPUTE_PGM_RSRC2:TGID_Z_EN: 1
; COMPUTE_PGM_RSRC2:TIDIG_COMP_CNT: 0
	.section	.text._ZL29rocblas_trtri_diagonal_kernelILi16E19rocblas_complex_numIfEPKPKS1_PKPS1_Ev13rocblas_fill_17rocblas_diagonal_iT1_lillT2_lilli,"axG",@progbits,_ZL29rocblas_trtri_diagonal_kernelILi16E19rocblas_complex_numIfEPKPKS1_PKPS1_Ev13rocblas_fill_17rocblas_diagonal_iT1_lillT2_lilli,comdat
	.globl	_ZL29rocblas_trtri_diagonal_kernelILi16E19rocblas_complex_numIfEPKPKS1_PKPS1_Ev13rocblas_fill_17rocblas_diagonal_iT1_lillT2_lilli ; -- Begin function _ZL29rocblas_trtri_diagonal_kernelILi16E19rocblas_complex_numIfEPKPKS1_PKPS1_Ev13rocblas_fill_17rocblas_diagonal_iT1_lillT2_lilli
	.p2align	8
	.type	_ZL29rocblas_trtri_diagonal_kernelILi16E19rocblas_complex_numIfEPKPKS1_PKPS1_Ev13rocblas_fill_17rocblas_diagonal_iT1_lillT2_lilli,@function
_ZL29rocblas_trtri_diagonal_kernelILi16E19rocblas_complex_numIfEPKPKS1_PKPS1_Ev13rocblas_fill_17rocblas_diagonal_iT1_lillT2_lilli: ; @_ZL29rocblas_trtri_diagonal_kernelILi16E19rocblas_complex_numIfEPKPKS1_PKPS1_Ev13rocblas_fill_17rocblas_diagonal_iT1_lillT2_lilli
; %bb.0:
	s_load_b128 s[8:11], s[0:1], 0x0
	s_waitcnt lgkmcnt(0)
	s_ashr_i32 s3, s10, 31
	s_delay_alu instid0(SALU_CYCLE_1) | instskip(NEXT) | instid1(SALU_CYCLE_1)
	s_lshr_b32 s3, s3, 27
	s_add_i32 s3, s10, s3
	s_delay_alu instid0(SALU_CYCLE_1) | instskip(NEXT) | instid1(SALU_CYCLE_1)
	s_ashr_i32 s3, s3, 5
	v_cvt_f32_u32_e32 v1, s3
	s_sub_i32 s5, 0, s3
	s_delay_alu instid0(VALU_DEP_1) | instskip(SKIP_2) | instid1(VALU_DEP_1)
	v_rcp_iflag_f32_e32 v1, v1
	s_waitcnt_depctr 0xfff
	v_mul_f32_e32 v1, 0x4f7ffffe, v1
	v_cvt_u32_f32_e32 v1, v1
	s_delay_alu instid0(VALU_DEP_1) | instskip(NEXT) | instid1(VALU_DEP_1)
	v_readfirstlane_b32 s4, v1
	s_mul_i32 s5, s5, s4
	s_delay_alu instid0(SALU_CYCLE_1) | instskip(NEXT) | instid1(SALU_CYCLE_1)
	s_mul_hi_u32 s5, s4, s5
	s_add_i32 s4, s4, s5
	s_delay_alu instid0(SALU_CYCLE_1) | instskip(NEXT) | instid1(SALU_CYCLE_1)
	s_mul_hi_u32 s4, s14, s4
	s_mul_i32 s5, s4, s3
	s_add_i32 s6, s4, 1
	s_sub_i32 s5, s14, s5
	s_delay_alu instid0(SALU_CYCLE_1)
	s_sub_i32 s7, s5, s3
	s_cmp_ge_u32 s5, s3
	s_cselect_b32 s4, s6, s4
	s_cselect_b32 s5, s7, s5
	s_add_i32 s6, s4, 1
	s_cmp_ge_u32 s5, s3
	s_cselect_b32 s24, s6, s4
	s_delay_alu instid0(SALU_CYCLE_1) | instskip(NEXT) | instid1(SALU_CYCLE_1)
	s_mul_i32 s3, s24, s3
	s_sub_i32 s25, s14, s3
	s_mov_b32 s3, 0
	s_lshl_b32 s11, s25, 4
	s_delay_alu instid0(SALU_CYCLE_1)
	s_cmp_eq_u32 s10, s11
	s_cbranch_scc1 .LBB26_110
; %bb.1:
	s_mov_b32 s2, s15
	s_clause 0x1
	s_load_b128 s[4:7], s[0:1], 0x10
	s_load_b128 s[12:15], s[0:1], 0x30
	s_lshl_b64 s[2:3], s[2:3], 3
	s_load_b64 s[16:17], s[0:1], 0x40
	v_mov_b32_e32 v1, v0
	s_waitcnt lgkmcnt(0)
	s_add_u32 s4, s4, s2
	s_addc_u32 s5, s5, s3
	s_add_u32 s2, s14, s2
	s_addc_u32 s3, s15, s3
	s_load_b64 s[18:19], s[4:5], 0x0
	s_load_b64 s[14:15], s[2:3], 0x0
	s_sub_i32 s23, s10, s11
	s_delay_alu instid0(SALU_CYCLE_1) | instskip(NEXT) | instid1(SALU_CYCLE_1)
	s_min_u32 s22, s23, 16
	s_lshl_b32 s10, s22, 1
	v_cmp_gt_u32_e64 s4, s22, v0
	v_cmp_le_u32_e64 s2, s22, v0
	v_cmp_gt_u32_e64 s3, s10, v0
	v_cmp_le_u32_e32 vcc_lo, s10, v0
	s_delay_alu instid0(VALU_DEP_3)
	s_and_saveexec_b32 s5, s2
	s_cbranch_execz .LBB26_7
; %bb.2:
                                        ; implicit-def: $vgpr1
	s_and_saveexec_b32 s11, vcc_lo
	s_delay_alu instid0(SALU_CYCLE_1)
	s_xor_b32 s11, exec_lo, s11
; %bb.3:
	v_subrev_nc_u32_e32 v1, s10, v0
; %bb.4:
	s_and_not1_saveexec_b32 s10, s11
; %bb.5:
	v_subrev_nc_u32_e32 v1, s22, v0
; %bb.6:
	s_or_b32 exec_lo, exec_lo, s10
.LBB26_7:
	s_delay_alu instid0(SALU_CYCLE_1) | instskip(SKIP_4) | instid1(VALU_DEP_1)
	s_or_b32 exec_lo, exec_lo, s5
	s_load_b32 s10, s[0:1], 0x20
	v_cndmask_b32_e64 v2, 0, 0x1800, s3
	s_mul_i32 s5, s24, s13
	s_mul_hi_u32 s13, s24, s12
	v_cndmask_b32_e64 v9, v2, 0x1000, s4
	s_waitcnt lgkmcnt(0)
	s_ashr_i32 s11, s10, 31
	s_delay_alu instid0(SALU_CYCLE_1) | instskip(NEXT) | instid1(SALU_CYCLE_1)
	s_lshl_b64 s[20:21], s[10:11], 5
	s_add_u32 s4, s20, 32
	s_addc_u32 s20, s21, 0
	s_add_i32 s5, s13, s5
	s_mul_hi_u32 s13, s4, s25
	s_mul_i32 s21, s20, s25
	s_mul_i32 s20, s4, s25
	s_add_i32 s21, s13, s21
	s_mul_i32 s4, s24, s12
	s_and_saveexec_b32 s12, vcc_lo
	s_delay_alu instid0(SALU_CYCLE_1)
	s_xor_b32 s26, exec_lo, s12
	s_cbranch_execz .LBB26_17
; %bb.8:
	s_mul_i32 s12, s22, 3
	s_mov_b32 s27, exec_lo
	v_cmpx_gt_u32_e64 s12, v0
	s_cbranch_execz .LBB26_16
; %bb.9:
	s_cmpk_eq_i32 s8, 0x7a
	s_mov_b32 s12, -1
	s_cbranch_scc1 .LBB26_13
; %bb.10:
	s_add_i32 s28, s22, -1
	s_lshl_b32 s36, s22, 3
	s_mul_i32 s13, s22, s28
	s_lshl_b64 s[30:31], s[4:5], 3
	s_lshl_b64 s[34:35], s[20:21], 3
	s_add_i32 s12, s22, 1
	s_lshl_b32 s33, s13, 3
	s_mov_b32 s29, 0
	s_sub_i32 s13, 0, s36
	v_lshlrev_b32_e32 v3, 3, v1
	s_add_u32 s30, s30, s34
	s_addc_u32 s31, s31, s35
	s_lshl_b64 s[28:29], s[28:29], 3
	v_ashrrev_i32_e32 v2, 31, v1
	s_add_u32 s28, s36, s28
	v_add3_u32 v4, s33, v3, v9
	s_mul_i32 s33, s28, s11
	s_mul_hi_u32 s34, s28, s10
	s_addc_u32 s29, 0, s29
	s_add_i32 s33, s34, s33
	s_mul_i32 s29, s29, s10
	s_mul_i32 s28, s28, s10
	s_add_i32 s33, s33, s29
	s_add_u32 s30, s30, s28
	s_addc_u32 s31, s31, s33
	s_lshl_b64 s[28:29], s[6:7], 3
	v_lshlrev_b64 v[2:3], 3, v[1:2]
	s_add_u32 s28, s30, s28
	s_addc_u32 s29, s31, s29
	s_add_u32 s28, s18, s28
	s_addc_u32 s29, s19, s29
	s_delay_alu instid0(VALU_DEP_1) | instskip(SKIP_2) | instid1(SALU_CYCLE_1)
	v_add_co_u32 v2, vcc_lo, s28, v2
	v_add_co_ci_u32_e32 v3, vcc_lo, s29, v3, vcc_lo
	s_lshl_b64 s[28:29], s[10:11], 3
	s_sub_u32 s28, 0, s28
	s_subb_u32 s29, 0, s29
.LBB26_11:                              ; =>This Inner Loop Header: Depth=1
	global_load_b64 v[5:6], v[2:3], off
	v_add_co_u32 v2, vcc_lo, v2, s28
	v_add_co_ci_u32_e32 v3, vcc_lo, s29, v3, vcc_lo
	s_add_i32 s12, s12, -1
	s_delay_alu instid0(SALU_CYCLE_1)
	s_cmp_gt_u32 s12, 1
	s_waitcnt vmcnt(0)
	ds_store_b64 v4, v[5:6]
	v_add_nc_u32_e32 v4, s13, v4
	s_cbranch_scc1 .LBB26_11
; %bb.12:
	s_mov_b32 s12, 0
.LBB26_13:
	s_delay_alu instid0(SALU_CYCLE_1)
	s_and_b32 vcc_lo, exec_lo, s12
	s_cbranch_vccz .LBB26_16
; %bb.14:
	v_add_nc_u32_e32 v2, s22, v1
	s_lshl_b64 s[12:13], s[6:7], 3
	v_lshl_add_u32 v4, v1, 3, v9
	s_add_u32 s28, s18, s12
	s_addc_u32 s29, s19, s13
	v_ashrrev_i32_e32 v3, 31, v2
	s_lshl_b64 s[12:13], s[20:21], 3
	s_delay_alu instid0(SALU_CYCLE_1) | instskip(SKIP_1) | instid1(VALU_DEP_1)
	s_add_u32 s28, s28, s12
	s_addc_u32 s29, s29, s13
	v_lshlrev_b64 v[2:3], 3, v[2:3]
	s_lshl_b64 s[12:13], s[4:5], 3
	s_delay_alu instid0(SALU_CYCLE_1) | instskip(SKIP_2) | instid1(VALU_DEP_1)
	s_add_u32 s12, s28, s12
	s_addc_u32 s13, s29, s13
	s_lshl_b32 s28, s22, 3
	v_add_co_u32 v2, vcc_lo, s12, v2
	v_add_co_ci_u32_e32 v3, vcc_lo, s13, v3, vcc_lo
	s_lshl_b64 s[12:13], s[10:11], 3
	s_mov_b32 s29, s22
.LBB26_15:                              ; =>This Inner Loop Header: Depth=1
	global_load_b64 v[5:6], v[2:3], off
	v_add_co_u32 v2, vcc_lo, v2, s12
	v_add_co_ci_u32_e32 v3, vcc_lo, s13, v3, vcc_lo
	s_add_i32 s29, s29, -1
	s_delay_alu instid0(SALU_CYCLE_1)
	s_cmp_eq_u32 s29, 0
	s_waitcnt vmcnt(0)
	ds_store_b64 v4, v[5:6]
	v_add_nc_u32_e32 v4, s28, v4
	s_cbranch_scc0 .LBB26_15
.LBB26_16:
	s_or_b32 exec_lo, exec_lo, s27
.LBB26_17:
	s_and_not1_saveexec_b32 s12, s26
	s_cbranch_execz .LBB26_31
; %bb.18:
	v_mov_b32_e32 v2, 0
	v_mov_b32_e32 v3, 0
	s_and_saveexec_b32 s13, s2
; %bb.19:
	s_add_u32 s26, s10, 1
	s_addc_u32 s27, s11, 0
	s_mul_hi_u32 s28, s26, s22
	s_mul_i32 s27, s27, s22
	s_mul_i32 s26, s26, s22
	s_add_i32 s27, s28, s27
	s_delay_alu instid0(SALU_CYCLE_1)
	v_dual_mov_b32 v2, s26 :: v_dual_mov_b32 v3, s27
; %bb.20:
	s_or_b32 exec_lo, exec_lo, s13
	s_delay_alu instid0(VALU_DEP_1)
	v_lshlrev_b64 v[3:4], 3, v[2:3]
	s_cmpk_lg_i32 s8, 0x7a
	s_mov_b32 s13, -1
	s_cbranch_scc0 .LBB26_26
; %bb.21:
	s_add_i32 s13, s22, -1
	s_lshl_b64 s[28:29], s[4:5], 3
	s_lshl_b64 s[30:31], s[20:21], 3
	s_lshl_b32 s26, s22, 3
	s_add_u32 s27, s28, s30
	s_mul_i32 s28, s11, s13
	s_mul_hi_u32 s30, s10, s13
	s_addc_u32 s31, s29, s31
	s_add_i32 s29, s30, s28
	s_mul_i32 s28, s10, s13
	v_ashrrev_i32_e32 v2, 31, v1
	s_lshl_b64 s[28:29], s[28:29], 3
	s_delay_alu instid0(SALU_CYCLE_1)
	s_add_u32 s27, s27, s28
	s_addc_u32 s30, s31, s29
	s_lshl_b64 s[28:29], s[6:7], 3
	v_lshlrev_b64 v[5:6], 3, v[1:2]
	s_add_u32 s27, s28, s27
	s_addc_u32 s28, s29, s30
	v_add_co_u32 v2, vcc_lo, s27, v3
	v_add_co_ci_u32_e32 v7, vcc_lo, s28, v4, vcc_lo
	s_lshl_b64 s[28:29], s[10:11], 3
	s_delay_alu instid0(VALU_DEP_2) | instskip(NEXT) | instid1(VALU_DEP_2)
	v_add_co_u32 v2, vcc_lo, v2, v5
	v_add_co_ci_u32_e32 v5, vcc_lo, v7, v6, vcc_lo
	v_sub_nc_u32_e32 v6, s13, v1
	s_delay_alu instid0(VALU_DEP_3) | instskip(NEXT) | instid1(VALU_DEP_3)
	v_add_co_u32 v7, vcc_lo, v2, s18
	v_add_co_ci_u32_e32 v8, vcc_lo, s19, v5, vcc_lo
	s_delay_alu instid0(VALU_DEP_3) | instskip(NEXT) | instid1(VALU_DEP_3)
	v_lshl_add_u32 v2, v6, 3, v9
	v_add_co_u32 v5, vcc_lo, v7, 4
	s_delay_alu instid0(VALU_DEP_3)
	v_add_co_ci_u32_e32 v6, vcc_lo, 0, v8, vcc_lo
	s_sub_u32 s27, 0, s28
	s_subb_u32 s28, 0, s29
	s_branch .LBB26_23
	.p2align	6
.LBB26_22:                              ;   in Loop: Header=BB26_23 Depth=1
	s_or_b32 exec_lo, exec_lo, s29
	v_add_co_u32 v5, vcc_lo, v5, s27
	s_waitcnt vmcnt(0)
	ds_store_b64 v2, v[7:8]
	v_add_nc_u32_e32 v2, s26, v2
	v_add_co_ci_u32_e32 v6, vcc_lo, s28, v6, vcc_lo
	s_add_i32 s13, s13, -1
	s_delay_alu instid0(SALU_CYCLE_1)
	s_cmp_eq_u32 s13, -1
	s_cbranch_scc1 .LBB26_25
.LBB26_23:                              ; =>This Inner Loop Header: Depth=1
	v_dual_mov_b32 v7, 0 :: v_dual_mov_b32 v8, 0
	s_mov_b32 s29, exec_lo
	v_cmpx_ge_i32_e64 s13, v1
	s_cbranch_execz .LBB26_22
; %bb.24:                               ;   in Loop: Header=BB26_23 Depth=1
	global_load_b64 v[7:8], v[5:6], off offset:-4
	s_branch .LBB26_22
.LBB26_25:
	s_mov_b32 s13, 0
.LBB26_26:
	s_delay_alu instid0(SALU_CYCLE_1)
	s_and_b32 vcc_lo, exec_lo, s13
	s_cbranch_vccz .LBB26_31
; %bb.27:
	s_lshl_b64 s[4:5], s[4:5], 3
	s_lshl_b64 s[20:21], s[20:21], 3
	v_ashrrev_i32_e32 v2, 31, v1
	s_lshl_b32 s13, s22, 3
	s_add_u32 s20, s4, s20
	s_addc_u32 s21, s5, s21
	s_lshl_b64 s[4:5], s[6:7], 3
	v_lshlrev_b64 v[5:6], 3, v[1:2]
	s_add_u32 s4, s4, s20
	s_addc_u32 s5, s5, s21
	v_add_co_u32 v2, vcc_lo, s4, v3
	v_add_co_ci_u32_e32 v3, vcc_lo, s5, v4, vcc_lo
	s_lshl_b64 s[4:5], s[10:11], 3
	s_delay_alu instid0(VALU_DEP_2) | instskip(NEXT) | instid1(VALU_DEP_2)
	v_add_co_u32 v2, vcc_lo, v2, v5
	v_add_co_ci_u32_e32 v3, vcc_lo, v3, v6, vcc_lo
	v_lshl_add_u32 v6, v1, 3, v9
	s_delay_alu instid0(VALU_DEP_3) | instskip(NEXT) | instid1(VALU_DEP_3)
	v_add_co_u32 v2, vcc_lo, v2, s18
	v_add_co_ci_u32_e32 v3, vcc_lo, s19, v3, vcc_lo
	s_mov_b32 s6, 0
	s_delay_alu instid0(VALU_DEP_2) | instskip(NEXT) | instid1(VALU_DEP_2)
	v_add_co_u32 v2, vcc_lo, v2, 4
	v_add_co_ci_u32_e32 v3, vcc_lo, 0, v3, vcc_lo
	s_branch .LBB26_29
	.p2align	6
.LBB26_28:                              ;   in Loop: Header=BB26_29 Depth=1
	s_or_b32 exec_lo, exec_lo, s7
	v_add_co_u32 v2, vcc_lo, v2, s4
	s_waitcnt vmcnt(0)
	ds_store_b64 v6, v[4:5]
	v_add_nc_u32_e32 v6, s13, v6
	v_add_co_ci_u32_e32 v3, vcc_lo, s5, v3, vcc_lo
	s_add_i32 s6, s6, 1
	s_delay_alu instid0(SALU_CYCLE_1)
	s_cmp_eq_u32 s22, s6
	s_cbranch_scc1 .LBB26_31
.LBB26_29:                              ; =>This Inner Loop Header: Depth=1
	v_dual_mov_b32 v4, 0 :: v_dual_mov_b32 v5, 0
	s_mov_b32 s7, exec_lo
	v_cmpx_le_i32_e64 s6, v1
	s_cbranch_execz .LBB26_28
; %bb.30:                               ;   in Loop: Header=BB26_29 Depth=1
	global_load_b64 v[4:5], v[2:3], off offset:-4
	s_branch .LBB26_28
.LBB26_31:
	s_or_b32 exec_lo, exec_lo, s12
	s_waitcnt lgkmcnt(0)
	s_barrier
	buffer_gl0_inv
	s_and_saveexec_b32 s5, s3
	s_cbranch_execz .LBB26_44
; %bb.32:
	s_add_i32 s4, s22, 1
	s_cmpk_lg_i32 s9, 0x84
	v_mul_i32_i24_e32 v2, s4, v1
	s_mov_b32 s4, -1
	s_delay_alu instid0(VALU_DEP_1)
	v_lshl_add_u32 v6, v2, 3, v9
	s_cbranch_scc0 .LBB26_42
; %bb.33:
	ds_load_b64 v[2:3], v6
	s_waitcnt lgkmcnt(0)
	v_cmp_neq_f32_e32 vcc_lo, 0, v2
	v_cmp_neq_f32_e64 s4, 0, v3
	s_delay_alu instid0(VALU_DEP_1) | instskip(NEXT) | instid1(SALU_CYCLE_1)
	s_or_b32 s4, vcc_lo, s4
	s_and_saveexec_b32 s6, s4
	s_delay_alu instid0(SALU_CYCLE_1)
	s_xor_b32 s4, exec_lo, s6
	s_cbranch_execz .LBB26_39
; %bb.34:
	v_cmp_gt_f32_e32 vcc_lo, 0, v2
	v_cndmask_b32_e64 v4, v2, -v2, vcc_lo
	v_cmp_gt_f32_e32 vcc_lo, 0, v3
	v_cndmask_b32_e64 v5, v3, -v3, vcc_lo
	s_delay_alu instid0(VALU_DEP_1) | instskip(SKIP_1) | instid1(SALU_CYCLE_1)
	v_cmp_ngt_f32_e32 vcc_lo, v4, v5
                                        ; implicit-def: $vgpr4
	s_and_saveexec_b32 s6, vcc_lo
	s_xor_b32 s6, exec_lo, s6
	s_cbranch_execz .LBB26_36
; %bb.35:
	v_div_scale_f32 v4, null, v3, v3, v2
	v_div_scale_f32 v8, vcc_lo, v2, v3, v2
	s_delay_alu instid0(VALU_DEP_2) | instskip(SKIP_2) | instid1(VALU_DEP_1)
	v_rcp_f32_e32 v5, v4
	s_waitcnt_depctr 0xfff
	v_fma_f32 v7, -v4, v5, 1.0
	v_fmac_f32_e32 v5, v7, v5
	s_delay_alu instid0(VALU_DEP_1) | instskip(NEXT) | instid1(VALU_DEP_1)
	v_mul_f32_e32 v7, v8, v5
	v_fma_f32 v10, -v4, v7, v8
	s_delay_alu instid0(VALU_DEP_1) | instskip(NEXT) | instid1(VALU_DEP_1)
	v_fmac_f32_e32 v7, v10, v5
	v_fma_f32 v4, -v4, v7, v8
	s_delay_alu instid0(VALU_DEP_1) | instskip(NEXT) | instid1(VALU_DEP_1)
	v_div_fmas_f32 v4, v4, v5, v7
	v_div_fixup_f32 v4, v4, v3, v2
	s_delay_alu instid0(VALU_DEP_1) | instskip(NEXT) | instid1(VALU_DEP_1)
	v_fmac_f32_e32 v3, v2, v4
	v_div_scale_f32 v2, null, v3, v3, 1.0
	v_div_scale_f32 v8, vcc_lo, 1.0, v3, 1.0
	s_delay_alu instid0(VALU_DEP_2) | instskip(SKIP_2) | instid1(VALU_DEP_1)
	v_rcp_f32_e32 v5, v2
	s_waitcnt_depctr 0xfff
	v_fma_f32 v7, -v2, v5, 1.0
	v_fmac_f32_e32 v5, v7, v5
	s_delay_alu instid0(VALU_DEP_1) | instskip(NEXT) | instid1(VALU_DEP_1)
	v_mul_f32_e32 v7, v8, v5
	v_fma_f32 v10, -v2, v7, v8
	s_delay_alu instid0(VALU_DEP_1) | instskip(NEXT) | instid1(VALU_DEP_1)
	v_fmac_f32_e32 v7, v10, v5
	v_fma_f32 v2, -v2, v7, v8
	s_delay_alu instid0(VALU_DEP_1) | instskip(NEXT) | instid1(VALU_DEP_1)
	v_div_fmas_f32 v2, v2, v5, v7
	v_div_fixup_f32 v2, v2, v3, 1.0
	s_delay_alu instid0(VALU_DEP_1)
	v_mul_f32_e32 v4, v4, v2
	v_xor_b32_e32 v5, 0x80000000, v2
                                        ; implicit-def: $vgpr2_vgpr3
.LBB26_36:
	s_and_not1_saveexec_b32 s6, s6
	s_cbranch_execz .LBB26_38
; %bb.37:
	v_div_scale_f32 v4, null, v2, v2, v3
	v_div_scale_f32 v8, vcc_lo, v3, v2, v3
	s_delay_alu instid0(VALU_DEP_2) | instskip(SKIP_2) | instid1(VALU_DEP_1)
	v_rcp_f32_e32 v5, v4
	s_waitcnt_depctr 0xfff
	v_fma_f32 v7, -v4, v5, 1.0
	v_fmac_f32_e32 v5, v7, v5
	s_delay_alu instid0(VALU_DEP_1) | instskip(NEXT) | instid1(VALU_DEP_1)
	v_mul_f32_e32 v7, v8, v5
	v_fma_f32 v10, -v4, v7, v8
	s_delay_alu instid0(VALU_DEP_1) | instskip(NEXT) | instid1(VALU_DEP_1)
	v_fmac_f32_e32 v7, v10, v5
	v_fma_f32 v4, -v4, v7, v8
	s_delay_alu instid0(VALU_DEP_1) | instskip(NEXT) | instid1(VALU_DEP_1)
	v_div_fmas_f32 v4, v4, v5, v7
	v_div_fixup_f32 v5, v4, v2, v3
	s_delay_alu instid0(VALU_DEP_1) | instskip(NEXT) | instid1(VALU_DEP_1)
	v_fmac_f32_e32 v2, v3, v5
	v_div_scale_f32 v3, null, v2, v2, 1.0
	s_delay_alu instid0(VALU_DEP_1) | instskip(SKIP_2) | instid1(VALU_DEP_1)
	v_rcp_f32_e32 v4, v3
	s_waitcnt_depctr 0xfff
	v_fma_f32 v7, -v3, v4, 1.0
	v_fmac_f32_e32 v4, v7, v4
	v_div_scale_f32 v7, vcc_lo, 1.0, v2, 1.0
	s_delay_alu instid0(VALU_DEP_1) | instskip(NEXT) | instid1(VALU_DEP_1)
	v_mul_f32_e32 v8, v7, v4
	v_fma_f32 v10, -v3, v8, v7
	s_delay_alu instid0(VALU_DEP_1) | instskip(NEXT) | instid1(VALU_DEP_1)
	v_fmac_f32_e32 v8, v10, v4
	v_fma_f32 v3, -v3, v8, v7
	s_delay_alu instid0(VALU_DEP_1) | instskip(NEXT) | instid1(VALU_DEP_1)
	v_div_fmas_f32 v3, v3, v4, v8
	v_div_fixup_f32 v4, v3, v2, 1.0
	s_delay_alu instid0(VALU_DEP_1)
	v_mul_f32_e64 v5, v5, -v4
.LBB26_38:
	s_or_b32 exec_lo, exec_lo, s6
	ds_store_b64 v6, v[4:5]
.LBB26_39:
	s_and_not1_saveexec_b32 s4, s4
	s_cbranch_execz .LBB26_41
; %bb.40:
	v_dual_mov_b32 v2, 1.0 :: v_dual_mov_b32 v3, 0
	ds_store_b64 v6, v[2:3]
.LBB26_41:
	s_or_b32 exec_lo, exec_lo, s4
	s_mov_b32 s4, 0
.LBB26_42:
	s_delay_alu instid0(SALU_CYCLE_1)
	s_and_not1_b32 vcc_lo, exec_lo, s4
	s_cbranch_vccnz .LBB26_44
; %bb.43:
	v_dual_mov_b32 v2, 1.0 :: v_dual_mov_b32 v3, 0
	ds_store_b64 v6, v[2:3]
.LBB26_44:
	s_or_b32 exec_lo, exec_lo, s5
	s_waitcnt lgkmcnt(0)
	s_barrier
	buffer_gl0_inv
	s_and_saveexec_b32 s4, s3
	s_cbranch_execz .LBB26_56
; %bb.45:
	s_add_i32 s5, s22, 1
	v_lshlrev_b32_e32 v5, 3, v1
	v_mul_i32_i24_e32 v4, s5, v1
	s_lshl_b32 s5, s22, 3
	v_add_nc_u32_e32 v2, 8, v9
	s_add_i32 s6, s5, 8
	v_add_nc_u32_e32 v3, v9, v5
	v_lshl_add_u32 v4, v4, 3, v9
	v_add3_u32 v5, v5, s5, v9
	s_mov_b32 s7, 0
	s_branch .LBB26_47
.LBB26_46:                              ;   in Loop: Header=BB26_47 Depth=1
	s_set_inst_prefetch_distance 0x2
	v_add_nc_u32_e32 v2, s6, v2
	v_add_nc_u32_e32 v5, s5, v5
	s_cmp_eq_u32 s7, s22
	s_cbranch_scc1 .LBB26_56
.LBB26_47:                              ; =>This Loop Header: Depth=1
                                        ;     Child Loop BB26_52 Depth 2
	v_dual_mov_b32 v6, 0 :: v_dual_mov_b32 v7, 0
	s_mul_i32 s9, s7, s22
	s_mov_b32 s10, exec_lo
	v_cmpx_lt_i32_e64 s7, v1
	s_cbranch_execz .LBB26_49
; %bb.48:                               ;   in Loop: Header=BB26_47 Depth=1
	s_lshl_b32 s11, s9, 3
	s_lshl_b32 s12, s7, 3
	v_add_nc_u32_e32 v6, s11, v3
	v_add3_u32 v8, s11, s12, v9
	ds_load_b64 v[6:7], v6
	ds_load_b64 v[10:11], v8
	s_waitcnt lgkmcnt(0)
	v_mul_f32_e32 v8, v11, v7
	s_delay_alu instid0(VALU_DEP_1) | instskip(SKIP_1) | instid1(VALU_DEP_1)
	v_fma_f32 v8, v10, v6, -v8
	v_mul_f32_e32 v7, v10, v7
	v_dual_fmac_f32 v7, v11, v6 :: v_dual_add_f32 v6, 0, v8
	s_delay_alu instid0(VALU_DEP_1)
	v_add_f32_e32 v7, 0, v7
.LBB26_49:                              ;   in Loop: Header=BB26_47 Depth=1
	s_or_b32 exec_lo, exec_lo, s10
	s_add_i32 s7, s7, 1
	s_delay_alu instid0(SALU_CYCLE_1)
	s_cmp_ge_u32 s7, s22
	s_cbranch_scc1 .LBB26_46
; %bb.50:                               ;   in Loop: Header=BB26_47 Depth=1
	v_lshl_add_u32 v8, s9, 3, v3
	v_dual_mov_b32 v10, v5 :: v_dual_mov_b32 v11, v2
	s_mov_b32 s9, s7
	s_set_inst_prefetch_distance 0x1
	s_branch .LBB26_52
	.p2align	6
.LBB26_51:                              ;   in Loop: Header=BB26_52 Depth=2
	s_or_b32 exec_lo, exec_lo, s10
	v_add_nc_u32_e32 v11, 8, v11
	v_add_nc_u32_e32 v10, s5, v10
	s_add_i32 s9, s9, 1
	s_delay_alu instid0(SALU_CYCLE_1)
	s_cmp_ge_u32 s9, s22
	s_cbranch_scc1 .LBB26_46
.LBB26_52:                              ;   Parent Loop BB26_47 Depth=1
                                        ; =>  This Inner Loop Header: Depth=2
	s_mov_b32 s10, exec_lo
	v_cmpx_eq_u32_e64 s9, v1
	s_cbranch_execz .LBB26_54
; %bb.53:                               ;   in Loop: Header=BB26_52 Depth=2
	ds_load_b64 v[12:13], v4
	s_waitcnt lgkmcnt(0)
	v_dual_sub_f32 v15, 0, v6 :: v_dual_mul_f32 v14, v7, v13
	v_mul_f32_e32 v16, v7, v12
	s_delay_alu instid0(VALU_DEP_2) | instskip(NEXT) | instid1(VALU_DEP_2)
	v_fmac_f32_e32 v14, v15, v12
	v_fma_f32 v15, -v6, v13, -v16
	ds_store_b64 v8, v[14:15]
.LBB26_54:                              ;   in Loop: Header=BB26_52 Depth=2
	s_or_b32 exec_lo, exec_lo, s10
	s_delay_alu instid0(SALU_CYCLE_1)
	s_mov_b32 s10, exec_lo
	v_cmpx_lt_i32_e64 s9, v1
	s_cbranch_execz .LBB26_51
; %bb.55:                               ;   in Loop: Header=BB26_52 Depth=2
	ds_load_b64 v[12:13], v10
	ds_load_b64 v[14:15], v11
	s_waitcnt lgkmcnt(0)
	v_mul_f32_e32 v16, v15, v13
	v_mul_f32_e32 v13, v14, v13
	s_delay_alu instid0(VALU_DEP_2) | instskip(NEXT) | instid1(VALU_DEP_1)
	v_fma_f32 v14, v14, v12, -v16
	v_dual_fmac_f32 v13, v15, v12 :: v_dual_add_f32 v6, v6, v14
	s_delay_alu instid0(VALU_DEP_1)
	v_add_f32_e32 v7, v7, v13
	s_branch .LBB26_51
.LBB26_56:
	s_or_b32 exec_lo, exec_lo, s4
	s_and_b32 s4, s22, 0xffff
	v_cvt_f32_ubyte0_e32 v4, v0
	v_cvt_f32_u32_e32 v2, s4
	s_mul_i32 s4, s22, s22
	s_cmpk_lg_i32 s8, 0x7a
	v_cmp_gt_u32_e64 s4, s4, v0
	s_cselect_b32 s5, -1, 0
	v_rcp_iflag_f32_e32 v3, v2
	s_mov_b32 s9, 0
	s_waitcnt lgkmcnt(0)
	s_barrier
	buffer_gl0_inv
	v_mul_f32_e32 v3, v4, v3
	s_delay_alu instid0(VALU_DEP_1) | instskip(NEXT) | instid1(VALU_DEP_1)
	v_trunc_f32_e32 v3, v3
	v_fma_f32 v4, -v3, v2, v4
	v_cvt_u32_f32_e32 v3, v3
	s_delay_alu instid0(VALU_DEP_2) | instskip(NEXT) | instid1(VALU_DEP_2)
	v_cmp_ge_f32_e64 vcc_lo, |v4|, v2
	v_add_co_ci_u32_e32 v2, vcc_lo, 0, v3, vcc_lo
	s_and_b32 vcc_lo, exec_lo, s5
	s_delay_alu instid0(VALU_DEP_1) | instskip(SKIP_1) | instid1(VALU_DEP_1)
	v_and_b32_e32 v8, 0xffff, v2
	v_mul_lo_u16 v3, v2, s22
	v_sub_nc_u16 v3, v0, v3
	s_delay_alu instid0(VALU_DEP_1)
	v_and_b32_e32 v7, 0xffff, v3
	s_cbranch_vccz .LBB26_68
; %bb.57:
	s_mov_b32 s6, 0
                                        ; implicit-def: $vgpr3
                                        ; implicit-def: $vgpr0
	s_and_saveexec_b32 s7, s4
	s_cbranch_execz .LBB26_67
; %bb.58:
	v_dual_mov_b32 v2, 0 :: v_dual_add_nc_u32 v5, 1, v8
	v_dual_mov_b32 v0, 0 :: v_dual_mov_b32 v3, 0
	v_lshlrev_b32_e32 v4, 7, v8
	s_mov_b32 s8, exec_lo
	v_cmpx_lt_u16_e32 2, v8
	s_cbranch_execz .LBB26_62
; %bb.59:
	v_dual_mov_b32 v3, 0 :: v_dual_and_b32 v0, 0x7fc, v5
	v_lshlrev_b32_e32 v6, 3, v7
	v_sub_nc_u32_e32 v10, 0x1fe0, v4
	v_mov_b32_e32 v2, 0
	s_mov_b32 s10, 0
	s_set_inst_prefetch_distance 0x1
	.p2align	6
.LBB26_60:                              ; =>This Inner Loop Header: Depth=1
	ds_load_2addr_b64 v[11:14], v6 offset1:16
	ds_load_b128 v[15:18], v10 offset:16
	ds_load_b128 v[19:22], v10
	ds_load_2addr_b64 v[23:26], v6 offset0:32 offset1:48
	s_add_i32 s10, s10, 4
	v_add_nc_u32_e32 v6, 0x200, v6
	v_cmp_eq_u32_e32 vcc_lo, s10, v0
	v_subrev_nc_u32_e32 v10, 32, v10
	s_or_b32 s9, vcc_lo, s9
	s_waitcnt lgkmcnt(2)
	v_dual_mul_f32 v27, v18, v12 :: v_dual_mul_f32 v28, v16, v14
	v_mul_f32_e32 v12, v17, v12
	s_waitcnt lgkmcnt(0)
	v_dual_mul_f32 v14, v15, v14 :: v_dual_mul_f32 v29, v22, v24
	s_delay_alu instid0(VALU_DEP_3) | instskip(SKIP_2) | instid1(VALU_DEP_4)
	v_fma_f32 v17, v17, v11, -v27
	v_fma_f32 v15, v15, v13, -v28
	v_fmac_f32_e32 v12, v18, v11
	v_fmac_f32_e32 v14, v16, v13
	v_mul_f32_e32 v11, v20, v26
	v_fma_f32 v13, v21, v23, -v29
	s_delay_alu instid0(VALU_DEP_4) | instskip(SKIP_3) | instid1(VALU_DEP_3)
	v_add_f32_e32 v3, v3, v12
	v_mul_f32_e32 v24, v21, v24
	v_mul_f32_e32 v12, v19, v26
	v_fma_f32 v11, v19, v25, -v11
	v_dual_add_f32 v3, v3, v14 :: v_dual_fmac_f32 v24, v22, v23
	s_delay_alu instid0(VALU_DEP_1) | instskip(NEXT) | instid1(VALU_DEP_1)
	v_dual_fmac_f32 v12, v20, v25 :: v_dual_add_f32 v3, v3, v24
	v_dual_add_f32 v2, v2, v17 :: v_dual_add_f32 v3, v3, v12
	s_delay_alu instid0(VALU_DEP_1) | instskip(NEXT) | instid1(VALU_DEP_1)
	v_add_f32_e32 v2, v2, v15
	v_add_f32_e32 v2, v2, v13
	s_delay_alu instid0(VALU_DEP_1)
	v_add_f32_e32 v2, v2, v11
	s_and_not1_b32 exec_lo, exec_lo, s9
	s_cbranch_execnz .LBB26_60
; %bb.61:
	s_set_inst_prefetch_distance 0x2
	s_or_b32 exec_lo, exec_lo, s9
.LBB26_62:
	s_delay_alu instid0(SALU_CYCLE_1) | instskip(SKIP_3) | instid1(VALU_DEP_1)
	s_or_b32 exec_lo, exec_lo, s8
	v_and_b32_e32 v5, 3, v5
	s_mov_b32 s9, 0
	s_mov_b32 s8, exec_lo
	v_cmpx_ne_u32_e32 0, v5
	s_cbranch_execz .LBB26_66
; %bb.63:
	v_lshl_add_u32 v4, v0, 3, v4
	v_lshlrev_b32_e32 v6, 3, v7
	s_delay_alu instid0(VALU_DEP_2) | instskip(NEXT) | instid1(VALU_DEP_2)
	v_sub_nc_u32_e32 v4, 0x1ff8, v4
	v_lshl_add_u32 v0, v0, 7, v6
	.p2align	6
.LBB26_64:                              ; =>This Inner Loop Header: Depth=1
	ds_load_b64 v[10:11], v0
	ds_load_b64 v[12:13], v4
	v_add_nc_u32_e32 v5, -1, v5
	v_add_nc_u32_e32 v4, -8, v4
	v_add_nc_u32_e32 v0, 0x80, v0
	s_delay_alu instid0(VALU_DEP_3) | instskip(SKIP_4) | instid1(VALU_DEP_2)
	v_cmp_eq_u32_e32 vcc_lo, 0, v5
	s_or_b32 s9, vcc_lo, s9
	s_waitcnt lgkmcnt(0)
	v_mul_f32_e32 v6, v13, v11
	v_mul_f32_e32 v11, v12, v11
	v_fma_f32 v6, v12, v10, -v6
	s_delay_alu instid0(VALU_DEP_2) | instskip(NEXT) | instid1(VALU_DEP_1)
	v_fmac_f32_e32 v11, v13, v10
	v_dual_add_f32 v2, v2, v6 :: v_dual_add_f32 v3, v3, v11
	s_and_not1_b32 exec_lo, exec_lo, s9
	s_cbranch_execnz .LBB26_64
; %bb.65:
	s_or_b32 exec_lo, exec_lo, s9
.LBB26_66:
	s_delay_alu instid0(SALU_CYCLE_1) | instskip(NEXT) | instid1(SALU_CYCLE_1)
	s_or_b32 exec_lo, exec_lo, s8
	s_mov_b32 s9, exec_lo
	v_lshlrev_b32_e32 v0, 4, v8
.LBB26_67:
	s_or_b32 exec_lo, exec_lo, s7
	s_delay_alu instid0(SALU_CYCLE_1)
	s_and_b32 vcc_lo, exec_lo, s6
	s_cbranch_vccnz .LBB26_69
	s_branch .LBB26_76
.LBB26_68:
                                        ; implicit-def: $vgpr3
                                        ; implicit-def: $vgpr0
	s_cbranch_execz .LBB26_76
.LBB26_69:
                                        ; implicit-def: $vgpr3
                                        ; implicit-def: $vgpr0
	s_and_saveexec_b32 s6, s4
	s_cbranch_execz .LBB26_75
; %bb.70:
	v_dual_mov_b32 v3, 0 :: v_dual_mov_b32 v2, 0
	s_mov_b32 s7, exec_lo
	v_cmpx_gt_u16_e32 16, v8
	s_cbranch_execz .LBB26_74
; %bb.71:
	v_dual_mov_b32 v3, 0 :: v_dual_lshlrev_b32 v2, 3, v7
	s_movk_i32 s8, 0x88
	v_add_nc_u32_e32 v0, -1, v8
	v_mad_u32_u24 v4, v8, s8, 0x1000
	s_delay_alu instid0(VALU_DEP_3)
	v_lshl_add_u32 v5, v8, 7, v2
	v_mov_b32_e32 v2, 0
	s_mov_b32 s8, 0
	.p2align	6
.LBB26_72:                              ; =>This Inner Loop Header: Depth=1
	ds_load_b64 v[10:11], v5
	ds_load_b64 v[12:13], v4
	v_add_nc_u32_e32 v0, 1, v0
	v_add_nc_u32_e32 v5, 0x80, v5
	;; [unrolled: 1-line block ×3, first 2 shown]
	s_delay_alu instid0(VALU_DEP_3) | instskip(SKIP_4) | instid1(VALU_DEP_2)
	v_cmp_lt_u32_e32 vcc_lo, 14, v0
	s_or_b32 s8, vcc_lo, s8
	s_waitcnt lgkmcnt(0)
	v_mul_f32_e32 v6, v13, v11
	v_mul_f32_e32 v11, v12, v11
	v_fma_f32 v6, v12, v10, -v6
	s_delay_alu instid0(VALU_DEP_2) | instskip(NEXT) | instid1(VALU_DEP_1)
	v_fmac_f32_e32 v11, v13, v10
	v_dual_add_f32 v2, v2, v6 :: v_dual_add_f32 v3, v3, v11
	s_and_not1_b32 exec_lo, exec_lo, s8
	s_cbranch_execnz .LBB26_72
; %bb.73:
	s_or_b32 exec_lo, exec_lo, s8
.LBB26_74:
	s_delay_alu instid0(SALU_CYCLE_1)
	s_or_b32 exec_lo, exec_lo, s7
	v_lshlrev_b32_e32 v0, 4, v8
	s_or_b32 s9, s9, exec_lo
.LBB26_75:
	s_or_b32 exec_lo, exec_lo, s6
.LBB26_76:
	s_and_saveexec_b32 s6, s9
	s_cbranch_execz .LBB26_78
; %bb.77:
	v_add_lshl_u32 v0, v0, v7, 3
	ds_store_b64 v0, v[2:3] offset:2048
.LBB26_78:
	s_or_b32 exec_lo, exec_lo, s6
	s_clause 0x1
	s_load_b32 s6, s[0:1], 0x48
	s_load_b64 s[10:11], s[0:1], 0x58
	s_lshl_b64 s[0:1], s[16:17], 3
	s_waitcnt lgkmcnt(0)
	s_barrier
	buffer_gl0_inv
	s_ashr_i32 s7, s6, 31
	s_add_u32 s12, s14, s0
	s_addc_u32 s13, s15, s1
	s_lshl_b64 s[8:9], s[6:7], 5
	s_mul_i32 s11, s24, s11
	s_add_u32 s8, s8, 32
	s_addc_u32 s9, s9, 0
	s_mul_hi_u32 s16, s8, s25
	s_mul_i32 s9, s9, s25
	s_mul_i32 s8, s8, s25
	s_add_i32 s9, s16, s9
	s_mul_hi_u32 s16, s24, s10
	s_lshl_b64 s[8:9], s[8:9], 3
	s_mul_i32 s10, s24, s10
	s_add_u32 s12, s12, s8
	s_addc_u32 s13, s13, s9
	s_add_i32 s11, s16, s11
	s_delay_alu instid0(SALU_CYCLE_1) | instskip(NEXT) | instid1(SALU_CYCLE_1)
	s_lshl_b64 s[10:11], s[10:11], 3
	s_add_u32 s12, s12, s10
	s_addc_u32 s13, s13, s11
	s_and_b32 vcc_lo, exec_lo, s5
	s_cbranch_vccz .LBB26_84
; %bb.79:
	s_mov_b32 s17, 0
	s_mov_b32 s16, 0
                                        ; implicit-def: $vgpr6
                                        ; implicit-def: $vgpr2_vgpr3
	s_and_saveexec_b32 s18, s4
	s_cbranch_execz .LBB26_83
; %bb.80:
	v_sub_nc_u32_e32 v0, s22, v7
	v_mad_u32_u24 v3, s22, v8, v7
	v_mov_b32_e32 v6, 0
	s_lshl_b32 s19, s22, 3
	s_delay_alu instid0(SALU_CYCLE_1) | instskip(SKIP_3) | instid1(VALU_DEP_3)
	s_sub_i32 s19, 0, s19
	v_mul_i32_i24_e32 v2, s22, v0
	v_lshlrev_b32_e32 v0, 3, v7
	v_lshl_add_u32 v3, v3, 3, 0x800
	v_lshlrev_b32_e32 v2, 3, v2
	s_delay_alu instid0(VALU_DEP_1) | instskip(SKIP_1) | instid1(VALU_DEP_2)
	v_sub_nc_u32_e32 v5, v2, v0
	v_add_nc_u32_e32 v2, -1, v7
	v_dual_mov_b32 v4, 0 :: v_dual_add_nc_u32 v5, 0xff8, v5
	.p2align	6
.LBB26_81:                              ; =>This Inner Loop Header: Depth=1
	ds_load_b64 v[10:11], v5
	ds_load_b64 v[12:13], v3
	v_add_nc_u32_e32 v2, 1, v2
	v_add_nc_u32_e32 v3, 8, v3
	s_delay_alu instid0(VALU_DEP_2) | instskip(SKIP_4) | instid1(VALU_DEP_2)
	v_cmp_lt_u32_e32 vcc_lo, 14, v2
	s_or_b32 s16, vcc_lo, s16
	s_waitcnt lgkmcnt(0)
	v_mul_f32_e32 v14, v10, v12
	v_mul_f32_e32 v10, v10, v13
	v_fma_f32 v13, v11, v13, -v14
	s_delay_alu instid0(VALU_DEP_2) | instskip(SKIP_1) | instid1(VALU_DEP_3)
	v_fma_f32 v10, v12, -v11, -v10
	v_add_nc_u32_e32 v5, s19, v5
	v_add_f32_e32 v4, v4, v13
	s_delay_alu instid0(VALU_DEP_3)
	v_add_f32_e32 v6, v6, v10
	s_and_not1_b32 exec_lo, exec_lo, s16
	s_cbranch_execnz .LBB26_81
; %bb.82:
	s_or_b32 exec_lo, exec_lo, s16
	v_mad_i64_i32 v[2:3], null, v8, s6, 0
	s_mul_hi_i32 s21, s22, s6
	s_mul_i32 s20, s22, s6
	s_mov_b32 s16, exec_lo
	s_lshl_b64 s[20:21], s[20:21], 3
	s_delay_alu instid0(SALU_CYCLE_1) | instskip(NEXT) | instid1(VALU_DEP_1)
	s_add_u32 s19, s12, s20
	v_lshlrev_b64 v[2:3], 3, v[2:3]
	s_addc_u32 s20, s13, s21
	v_add_co_u32 v0, s19, s19, v0
	s_delay_alu instid0(VALU_DEP_1) | instskip(NEXT) | instid1(VALU_DEP_2)
	v_add_co_ci_u32_e64 v5, null, s20, 0, s19
	v_add_co_u32 v2, vcc_lo, v0, v2
	s_delay_alu instid0(VALU_DEP_2)
	v_add_co_ci_u32_e32 v3, vcc_lo, v5, v3, vcc_lo
	global_store_b32 v[2:3], v4, off
.LBB26_83:
	s_or_b32 exec_lo, exec_lo, s18
	s_delay_alu instid0(SALU_CYCLE_1)
	s_and_b32 vcc_lo, exec_lo, s17
	s_cbranch_vccnz .LBB26_85
	s_branch .LBB26_96
.LBB26_84:
	s_mov_b32 s16, 0
                                        ; implicit-def: $vgpr6
                                        ; implicit-def: $vgpr2_vgpr3
	s_cbranch_execz .LBB26_96
.LBB26_85:
                                        ; implicit-def: $vgpr6
                                        ; implicit-def: $vgpr2_vgpr3
	s_and_saveexec_b32 s17, s4
	s_cbranch_execz .LBB26_95
; %bb.86:
	v_mul_u32_u24_e32 v11, s22, v8
	v_dual_mov_b32 v6, 0 :: v_dual_add_nc_u32 v13, 1, v7
	v_mov_b32_e32 v12, 0
	v_mov_b32_e32 v10, 0
	s_mov_b32 s4, exec_lo
	v_cmpx_lt_u16_e32 6, v7
	s_cbranch_execz .LBB26_90
; %bb.87:
	v_lshl_add_u32 v0, v7, 3, 0x1800
	v_and_b32_e32 v12, 56, v13
	v_lshl_add_u32 v14, v11, 3, 0x800
	v_mov_b32_e32 v10, 0
	s_lshl_b32 s19, s22, 6
	v_mad_u64_u32 v[2:3], null, s22, 24, v[0:1]
	v_mad_u64_u32 v[3:4], null, s22, 40, v[0:1]
	;; [unrolled: 1-line block ×4, first 2 shown]
	v_lshl_add_u32 v15, s22, 3, v0
	v_lshl_add_u32 v16, s22, 4, v0
	;; [unrolled: 1-line block ×3, first 2 shown]
	v_mov_b32_e32 v6, 0
	s_mov_b32 s18, 0
	s_mov_b32 s20, 0
.LBB26_88:                              ; =>This Inner Loop Header: Depth=1
	ds_load_b64 v[34:35], v0
	ds_load_2addr_b64 v[18:21], v14 offset1:1
	ds_load_b64 v[36:37], v15
	ds_load_2addr_b64 v[22:25], v14 offset0:2 offset1:3
	ds_load_b64 v[38:39], v16
	ds_load_b64 v[40:41], v2
	;; [unrolled: 1-line block ×3, first 2 shown]
	ds_load_2addr_b64 v[26:29], v14 offset0:4 offset1:5
	ds_load_2addr_b64 v[30:33], v14 offset0:6 offset1:7
	ds_load_b64 v[44:45], v3
	ds_load_b64 v[46:47], v4
	ds_load_b64 v[48:49], v5
	v_add_nc_u32_e32 v15, s19, v15
	v_add_nc_u32_e32 v17, s19, v17
	;; [unrolled: 1-line block ×6, first 2 shown]
	s_add_i32 s20, s20, 8
	v_add_nc_u32_e32 v4, s19, v4
	v_cmp_eq_u32_e32 vcc_lo, s20, v12
	s_waitcnt lgkmcnt(10)
	v_mul_f32_e32 v50, v34, v18
	s_waitcnt lgkmcnt(9)
	v_dual_mul_f32 v34, v34, v19 :: v_dual_mul_f32 v51, v36, v20
	v_mul_f32_e32 v36, v36, v21
	s_waitcnt lgkmcnt(7)
	v_mul_f32_e32 v52, v38, v22
	v_fma_f32 v19, v35, v19, -v50
	v_fma_f32 v18, v18, -v35, -v34
	v_dual_mul_f32 v38, v38, v23 :: v_dual_add_nc_u32 v5, s19, v5
	v_fma_f32 v21, v37, v21, -v51
	v_fma_f32 v20, v20, -v37, -v36
	v_add_f32_e32 v10, v10, v19
	s_waitcnt lgkmcnt(6)
	v_dual_add_f32 v6, v6, v18 :: v_dual_mul_f32 v53, v40, v24
	v_mul_f32_e32 v40, v40, v25
	v_fma_f32 v19, v39, v23, -v52
	v_fma_f32 v22, v22, -v39, -v38
	v_add_f32_e32 v10, v10, v21
	v_add_f32_e32 v6, v6, v20
	s_waitcnt lgkmcnt(4)
	v_mul_f32_e32 v54, v42, v26
	v_mul_f32_e32 v42, v42, v27
	v_fma_f32 v21, v41, v25, -v53
	v_fma_f32 v23, v24, -v41, -v40
	v_add_f32_e32 v10, v10, v19
	v_add_f32_e32 v6, v6, v22
	s_waitcnt lgkmcnt(2)
	v_mul_f32_e32 v34, v44, v28
	;; [unrolled: 7-line block ×4, first 2 shown]
	v_mul_f32_e32 v22, v48, v33
	v_fma_f32 v20, v47, v31, -v20
	v_fma_f32 v19, v30, -v47, -v19
	v_add_f32_e32 v10, v10, v23
	v_add_f32_e32 v6, v6, v18
	v_fma_f32 v18, v49, v33, -v21
	v_fma_f32 v21, v32, -v49, -v22
	v_add_nc_u32_e32 v0, s19, v0
	v_add_f32_e32 v10, v10, v20
	v_add_f32_e32 v6, v6, v19
	s_or_b32 s18, vcc_lo, s18
	s_delay_alu instid0(VALU_DEP_2) | instskip(NEXT) | instid1(VALU_DEP_2)
	v_add_f32_e32 v10, v10, v18
	v_add_f32_e32 v6, v6, v21
	s_and_not1_b32 exec_lo, exec_lo, s18
	s_cbranch_execnz .LBB26_88
; %bb.89:
	s_or_b32 exec_lo, exec_lo, s18
.LBB26_90:
	s_delay_alu instid0(SALU_CYCLE_1) | instskip(SKIP_3) | instid1(VALU_DEP_1)
	s_or_b32 exec_lo, exec_lo, s4
	v_and_b32_e32 v0, 7, v13
	s_mov_b32 s18, 0
	s_mov_b32 s4, exec_lo
	v_cmpx_ne_u32_e32 0, v0
	s_cbranch_execz .LBB26_94
; %bb.91:
	v_add_nc_u32_e32 v2, v11, v12
	v_mad_u32_u24 v3, v12, s22, v7
	s_lshl_b32 s19, s22, 3
	s_delay_alu instid0(VALU_DEP_2) | instskip(NEXT) | instid1(VALU_DEP_2)
	v_lshl_add_u32 v2, v2, 3, 0x800
	v_lshl_add_u32 v3, v3, 3, 0x1800
	.p2align	6
.LBB26_92:                              ; =>This Inner Loop Header: Depth=1
	ds_load_b64 v[4:5], v3
	ds_load_b64 v[11:12], v2
	v_add_nc_u32_e32 v2, 8, v2
	v_add_nc_u32_e32 v0, -1, v0
	v_add_nc_u32_e32 v3, s19, v3
	s_delay_alu instid0(VALU_DEP_2) | instskip(SKIP_4) | instid1(VALU_DEP_2)
	v_cmp_eq_u32_e32 vcc_lo, 0, v0
	s_or_b32 s18, vcc_lo, s18
	s_waitcnt lgkmcnt(0)
	v_mul_f32_e32 v13, v4, v11
	v_mul_f32_e32 v4, v4, v12
	v_fma_f32 v12, v5, v12, -v13
	s_delay_alu instid0(VALU_DEP_2) | instskip(NEXT) | instid1(VALU_DEP_2)
	v_fma_f32 v4, v11, -v5, -v4
	v_add_f32_e32 v10, v10, v12
	s_delay_alu instid0(VALU_DEP_2)
	v_add_f32_e32 v6, v6, v4
	s_and_not1_b32 exec_lo, exec_lo, s18
	s_cbranch_execnz .LBB26_92
; %bb.93:
	s_or_b32 exec_lo, exec_lo, s18
.LBB26_94:
	s_delay_alu instid0(SALU_CYCLE_1) | instskip(SKIP_3) | instid1(VALU_DEP_2)
	s_or_b32 exec_lo, exec_lo, s4
	v_mad_i64_i32 v[2:3], null, v8, s6, 0
	v_add_lshl_u32 v0, s22, v7, 3
	s_or_b32 s16, s16, exec_lo
	v_lshlrev_b64 v[2:3], 3, v[2:3]
	s_delay_alu instid0(VALU_DEP_1) | instskip(NEXT) | instid1(VALU_DEP_2)
	v_add_co_u32 v2, vcc_lo, s12, v2
	v_add_co_ci_u32_e32 v3, vcc_lo, s13, v3, vcc_lo
	s_delay_alu instid0(VALU_DEP_2) | instskip(NEXT) | instid1(VALU_DEP_2)
	v_add_co_u32 v2, vcc_lo, v2, v0
	v_add_co_ci_u32_e32 v3, vcc_lo, 0, v3, vcc_lo
	global_store_b32 v[2:3], v10, off
.LBB26_95:
	s_or_b32 exec_lo, exec_lo, s17
.LBB26_96:
	s_and_saveexec_b32 s4, s16
	s_cbranch_execnz .LBB26_98
; %bb.97:
	s_or_b32 exec_lo, exec_lo, s4
	s_and_saveexec_b32 s4, s3
	s_cbranch_execnz .LBB26_99
	s_branch .LBB26_110
.LBB26_98:
	global_store_b32 v[2:3], v6, off offset:4
	s_or_b32 exec_lo, exec_lo, s4
	s_and_saveexec_b32 s4, s3
	s_cbranch_execz .LBB26_110
.LBB26_99:
	v_mov_b32_e32 v3, 0
	v_mov_b32_e32 v4, 0
	s_and_saveexec_b32 s3, s2
	s_cbranch_execnz .LBB26_102
; %bb.100:
	s_or_b32 exec_lo, exec_lo, s3
	s_delay_alu instid0(SALU_CYCLE_1)
	s_and_b32 vcc_lo, exec_lo, s5
	s_mov_b32 s2, -1
	s_cbranch_vccnz .LBB26_103
.LBB26_101:
	s_and_not1_b32 vcc_lo, exec_lo, s2
	s_cbranch_vccz .LBB26_107
	s_branch .LBB26_110
.LBB26_102:
	s_add_u32 s2, s6, 1
	s_addc_u32 s4, s7, 0
	s_mul_hi_u32 s16, s2, s22
	s_mul_i32 s4, s4, s22
	s_delay_alu instid0(SALU_CYCLE_1) | instskip(SKIP_1) | instid1(SALU_CYCLE_1)
	s_add_i32 s17, s16, s4
	s_mul_i32 s16, s2, s22
	v_dual_mov_b32 v3, s16 :: v_dual_mov_b32 v4, s17
	s_or_b32 exec_lo, exec_lo, s3
	s_delay_alu instid0(SALU_CYCLE_1)
	s_and_b32 vcc_lo, exec_lo, s5
	s_mov_b32 s2, -1
	s_cbranch_vccz .LBB26_101
.LBB26_103:
	s_mov_b32 s2, exec_lo
	v_cmpx_gt_i32_e64 s22, v1
	s_cbranch_execz .LBB26_106
; %bb.104:
	s_cmp_lt_u32 s23, 16
	v_ashrrev_i32_e32 v2, 31, v1
	s_cselect_b32 s3, s23, 16
	s_cselect_b32 s4, 0, 0
	s_add_u32 s3, s3, -1
	s_addc_u32 s4, s4, -1
	s_mul_i32 s5, s3, s7
	s_mul_hi_u32 s16, s3, s6
	s_mul_i32 s4, s4, s6
	s_add_i32 s5, s16, s5
	v_lshlrev_b64 v[5:6], 3, v[3:4]
	s_add_i32 s5, s5, s4
	s_mul_i32 s4, s3, s6
	v_lshlrev_b64 v[7:8], 3, v[1:2]
	s_lshl_b64 s[4:5], s[4:5], 3
	v_xad_u32 v0, v1, -1, s22
	s_add_u32 s3, s4, s10
	s_addc_u32 s4, s5, s11
	s_add_u32 s3, s3, s8
	s_addc_u32 s4, s4, s9
	;; [unrolled: 2-line block ×3, first 2 shown]
	v_add_co_u32 v2, vcc_lo, s0, v5
	v_add_co_ci_u32_e32 v5, vcc_lo, s1, v6, vcc_lo
	v_lshl_add_u32 v0, v0, 3, v9
	s_delay_alu instid0(VALU_DEP_3) | instskip(NEXT) | instid1(VALU_DEP_3)
	v_add_co_u32 v2, vcc_lo, v2, v7
	v_add_co_ci_u32_e32 v6, vcc_lo, v5, v8, vcc_lo
	s_lshl_b64 s[4:5], s[6:7], 3
	s_delay_alu instid0(VALU_DEP_2) | instskip(NEXT) | instid1(VALU_DEP_2)
	v_add_co_u32 v5, vcc_lo, s14, v2
	v_add_co_ci_u32_e32 v6, vcc_lo, s15, v6, vcc_lo
	s_sub_u32 s3, 0, s4
	s_mov_b32 s1, 0
	s_subb_u32 s4, 0, s5
	s_lshl_b32 s5, s22, 3
	s_mov_b32 s8, s22
.LBB26_105:                             ; =>This Inner Loop Header: Depth=1
	ds_load_b64 v[7:8], v0
	s_add_i32 s8, s8, -1
	v_add_nc_u32_e32 v0, s5, v0
	v_cmp_le_i32_e32 vcc_lo, s8, v1
	s_or_b32 s1, vcc_lo, s1
	s_waitcnt lgkmcnt(0)
	global_store_b64 v[5:6], v[7:8], off
	v_add_co_u32 v5, s0, v5, s3
	s_delay_alu instid0(VALU_DEP_1)
	v_add_co_ci_u32_e64 v6, s0, s4, v6, s0
	s_and_not1_b32 exec_lo, exec_lo, s1
	s_cbranch_execnz .LBB26_105
.LBB26_106:
	s_or_b32 exec_lo, exec_lo, s2
	s_cbranch_execnz .LBB26_110
.LBB26_107:
	v_cmp_lt_i32_e32 vcc_lo, -1, v1
	s_and_b32 exec_lo, exec_lo, vcc_lo
	s_cbranch_execz .LBB26_110
; %bb.108:
	v_mov_b32_e32 v2, 0
	v_lshlrev_b64 v[3:4], 3, v[3:4]
	v_lshl_add_u32 v0, v1, 3, v9
	s_lshl_b64 s[2:3], s[6:7], 3
	s_lshl_b32 s1, s22, 3
	v_lshlrev_b64 v[5:6], 3, v[1:2]
	v_add_nc_u32_e32 v1, 1, v1
	v_add_co_u32 v2, vcc_lo, s12, v3
	v_add_co_ci_u32_e32 v3, vcc_lo, s13, v4, vcc_lo
	s_mov_b32 s4, 0
	s_delay_alu instid0(VALU_DEP_2) | instskip(NEXT) | instid1(VALU_DEP_2)
	v_add_co_u32 v2, vcc_lo, v2, v5
	v_add_co_ci_u32_e32 v3, vcc_lo, v3, v6, vcc_lo
.LBB26_109:                             ; =>This Inner Loop Header: Depth=1
	ds_load_b64 v[4:5], v0
	v_add_nc_u32_e32 v1, -1, v1
	v_add_nc_u32_e32 v0, s1, v0
	s_delay_alu instid0(VALU_DEP_2) | instskip(SKIP_4) | instid1(VALU_DEP_1)
	v_cmp_eq_u32_e32 vcc_lo, 0, v1
	s_or_b32 s4, vcc_lo, s4
	s_waitcnt lgkmcnt(0)
	global_store_b64 v[2:3], v[4:5], off
	v_add_co_u32 v2, s0, v2, s2
	v_add_co_ci_u32_e64 v3, s0, s3, v3, s0
	s_and_not1_b32 exec_lo, exec_lo, s4
	s_cbranch_execnz .LBB26_109
.LBB26_110:
	s_nop 0
	s_sendmsg sendmsg(MSG_DEALLOC_VGPRS)
	s_endpgm
	.section	.rodata,"a",@progbits
	.p2align	6, 0x0
	.amdhsa_kernel _ZL29rocblas_trtri_diagonal_kernelILi16E19rocblas_complex_numIfEPKPKS1_PKPS1_Ev13rocblas_fill_17rocblas_diagonal_iT1_lillT2_lilli
		.amdhsa_group_segment_fixed_size 8192
		.amdhsa_private_segment_fixed_size 0
		.amdhsa_kernarg_size 100
		.amdhsa_user_sgpr_count 14
		.amdhsa_user_sgpr_dispatch_ptr 0
		.amdhsa_user_sgpr_queue_ptr 0
		.amdhsa_user_sgpr_kernarg_segment_ptr 1
		.amdhsa_user_sgpr_dispatch_id 0
		.amdhsa_user_sgpr_private_segment_size 0
		.amdhsa_wavefront_size32 1
		.amdhsa_uses_dynamic_stack 0
		.amdhsa_enable_private_segment 0
		.amdhsa_system_sgpr_workgroup_id_x 1
		.amdhsa_system_sgpr_workgroup_id_y 0
		.amdhsa_system_sgpr_workgroup_id_z 1
		.amdhsa_system_sgpr_workgroup_info 0
		.amdhsa_system_vgpr_workitem_id 0
		.amdhsa_next_free_vgpr 55
		.amdhsa_next_free_sgpr 37
		.amdhsa_reserve_vcc 1
		.amdhsa_float_round_mode_32 0
		.amdhsa_float_round_mode_16_64 0
		.amdhsa_float_denorm_mode_32 3
		.amdhsa_float_denorm_mode_16_64 3
		.amdhsa_dx10_clamp 1
		.amdhsa_ieee_mode 1
		.amdhsa_fp16_overflow 0
		.amdhsa_workgroup_processor_mode 1
		.amdhsa_memory_ordered 1
		.amdhsa_forward_progress 0
		.amdhsa_shared_vgpr_count 0
		.amdhsa_exception_fp_ieee_invalid_op 0
		.amdhsa_exception_fp_denorm_src 0
		.amdhsa_exception_fp_ieee_div_zero 0
		.amdhsa_exception_fp_ieee_overflow 0
		.amdhsa_exception_fp_ieee_underflow 0
		.amdhsa_exception_fp_ieee_inexact 0
		.amdhsa_exception_int_div_zero 0
	.end_amdhsa_kernel
	.section	.text._ZL29rocblas_trtri_diagonal_kernelILi16E19rocblas_complex_numIfEPKPKS1_PKPS1_Ev13rocblas_fill_17rocblas_diagonal_iT1_lillT2_lilli,"axG",@progbits,_ZL29rocblas_trtri_diagonal_kernelILi16E19rocblas_complex_numIfEPKPKS1_PKPS1_Ev13rocblas_fill_17rocblas_diagonal_iT1_lillT2_lilli,comdat
.Lfunc_end26:
	.size	_ZL29rocblas_trtri_diagonal_kernelILi16E19rocblas_complex_numIfEPKPKS1_PKPS1_Ev13rocblas_fill_17rocblas_diagonal_iT1_lillT2_lilli, .Lfunc_end26-_ZL29rocblas_trtri_diagonal_kernelILi16E19rocblas_complex_numIfEPKPKS1_PKPS1_Ev13rocblas_fill_17rocblas_diagonal_iT1_lillT2_lilli
                                        ; -- End function
	.section	.AMDGPU.csdata,"",@progbits
; Kernel info:
; codeLenInByte = 5192
; NumSgprs: 39
; NumVgprs: 55
; ScratchSize: 0
; MemoryBound: 0
; FloatMode: 240
; IeeeMode: 1
; LDSByteSize: 8192 bytes/workgroup (compile time only)
; SGPRBlocks: 4
; VGPRBlocks: 6
; NumSGPRsForWavesPerEU: 39
; NumVGPRsForWavesPerEU: 55
; Occupancy: 16
; WaveLimiterHint : 1
; COMPUTE_PGM_RSRC2:SCRATCH_EN: 0
; COMPUTE_PGM_RSRC2:USER_SGPR: 14
; COMPUTE_PGM_RSRC2:TRAP_HANDLER: 0
; COMPUTE_PGM_RSRC2:TGID_X_EN: 1
; COMPUTE_PGM_RSRC2:TGID_Y_EN: 0
; COMPUTE_PGM_RSRC2:TGID_Z_EN: 1
; COMPUTE_PGM_RSRC2:TIDIG_COMP_CNT: 0
	.section	.text._ZL30rocblas_trtri_remainder_kernelILi16E19rocblas_complex_numIfEPKPKS1_PKPS1_Ev13rocblas_fill_17rocblas_diagonal_iT1_lillT2_lilli,"axG",@progbits,_ZL30rocblas_trtri_remainder_kernelILi16E19rocblas_complex_numIfEPKPKS1_PKPS1_Ev13rocblas_fill_17rocblas_diagonal_iT1_lillT2_lilli,comdat
	.globl	_ZL30rocblas_trtri_remainder_kernelILi16E19rocblas_complex_numIfEPKPKS1_PKPS1_Ev13rocblas_fill_17rocblas_diagonal_iT1_lillT2_lilli ; -- Begin function _ZL30rocblas_trtri_remainder_kernelILi16E19rocblas_complex_numIfEPKPKS1_PKPS1_Ev13rocblas_fill_17rocblas_diagonal_iT1_lillT2_lilli
	.p2align	8
	.type	_ZL30rocblas_trtri_remainder_kernelILi16E19rocblas_complex_numIfEPKPKS1_PKPS1_Ev13rocblas_fill_17rocblas_diagonal_iT1_lillT2_lilli,@function
_ZL30rocblas_trtri_remainder_kernelILi16E19rocblas_complex_numIfEPKPKS1_PKPS1_Ev13rocblas_fill_17rocblas_diagonal_iT1_lillT2_lilli: ; @_ZL30rocblas_trtri_remainder_kernelILi16E19rocblas_complex_numIfEPKPKS1_PKPS1_Ev13rocblas_fill_17rocblas_diagonal_iT1_lillT2_lilli
; %bb.0:
	s_load_b128 s[8:11], s[0:1], 0x0
	s_waitcnt lgkmcnt(0)
	s_cmp_lt_i32 s10, 1
	s_cbranch_scc1 .LBB27_53
; %bb.1:
	s_clause 0x1
	s_load_b128 s[16:19], s[0:1], 0x30
	s_load_b64 s[20:21], s[0:1], 0x40
	s_mov_b32 s2, s15
	s_mov_b32 s3, 0
	s_delay_alu instid0(SALU_CYCLE_1)
	s_lshl_b64 s[22:23], s[2:3], 3
	s_waitcnt lgkmcnt(0)
	s_add_u32 s2, s18, s22
	s_addc_u32 s3, s19, s23
	s_load_b64 s[12:13], s[2:3], 0x0
	v_cmp_le_u32_e64 s3, s10, v0
	v_cmp_gt_u32_e64 s2, s10, v0
	s_delay_alu instid0(VALU_DEP_1)
	s_and_saveexec_b32 s11, s2
	s_cbranch_execz .LBB27_14
; %bb.2:
	s_clause 0x1
	s_load_b128 s[4:7], s[0:1], 0x10
	s_load_b32 s18, s[0:1], 0x20
	s_waitcnt lgkmcnt(0)
	s_add_u32 s4, s4, s22
	s_addc_u32 s5, s5, s23
	s_load_b64 s[22:23], s[4:5], 0x0
	s_mul_i32 s4, s14, s17
	s_mul_hi_u32 s5, s14, s16
	s_mul_i32 s16, s14, s16
	s_add_i32 s17, s5, s4
	s_cmpk_lg_i32 s8, 0x7a
	s_mov_b32 s4, -1
	s_cbranch_scc0 .LBB27_6
; %bb.3:
	s_ashr_i32 s19, s18, 31
	s_lshl_b32 s5, s10, 3
	s_ashr_i32 s4, s10, 31
	s_add_u32 s15, s10, -1
	s_addc_u32 s4, s4, -1
	s_mul_i32 s24, s15, s19
	s_mul_hi_u32 s25, s15, s18
	s_mul_i32 s4, s4, s18
	s_add_i32 s24, s25, s24
	s_lshl_b64 s[26:27], s[16:17], 3
	s_add_i32 s25, s24, s4
	s_mul_i32 s24, s15, s18
	v_lshlrev_b32_e32 v1, 3, v0
	s_lshl_b64 s[24:25], s[24:25], 3
	s_delay_alu instid0(SALU_CYCLE_1)
	s_add_u32 s4, s24, s26
	s_addc_u32 s15, s25, s27
	s_lshl_b64 s[24:25], s[6:7], 3
	v_sub_nc_u32_e32 v2, s5, v1
	s_add_u32 s4, s4, s24
	s_addc_u32 s15, s15, s25
	s_waitcnt lgkmcnt(0)
	s_add_u32 s4, s22, s4
	s_addc_u32 s15, s23, s15
	v_add_co_u32 v1, s4, s4, v1
	v_add_nc_u32_e32 v3, -8, v2
	s_lshl_b64 s[24:25], s[18:19], 3
	v_add_co_ci_u32_e64 v2, null, s15, 0, s4
	s_sub_u32 s15, 0, s24
	s_subb_u32 s24, 0, s25
	s_mov_b32 s19, 0
	s_mov_b32 s25, s10
.LBB27_4:                               ; =>This Inner Loop Header: Depth=1
	global_load_b64 v[4:5], v[1:2], off
	s_add_i32 s25, s25, -1
	v_add_co_u32 v1, vcc_lo, v1, s15
	v_cmp_le_i32_e64 s4, s25, v0
	v_add_co_ci_u32_e32 v2, vcc_lo, s24, v2, vcc_lo
	s_delay_alu instid0(VALU_DEP_2)
	s_or_b32 s19, s4, s19
	s_waitcnt vmcnt(0)
	ds_store_b64 v3, v[4:5]
	v_add_nc_u32_e32 v3, s5, v3
	s_and_not1_b32 exec_lo, exec_lo, s19
	s_cbranch_execnz .LBB27_4
; %bb.5:
	s_or_b32 exec_lo, exec_lo, s19
	s_mov_b32 s4, 0
.LBB27_6:
	s_delay_alu instid0(SALU_CYCLE_1)
	s_and_b32 vcc_lo, exec_lo, s4
	s_cbranch_vccz .LBB27_14
; %bb.7:
	v_dual_mov_b32 v3, 0 :: v_dual_add_nc_u32 v4, 1, v0
	s_ashr_i32 s19, s18, 31
	s_mov_b32 s5, exec_lo
	v_cmpx_lt_u32_e32 2, v0
	s_cbranch_execz .LBB27_11
; %bb.8:
	s_lshl_b64 s[24:25], s[6:7], 3
	v_lshlrev_b32_e32 v5, 3, v0
	s_waitcnt lgkmcnt(0)
	s_add_u32 s4, s22, s24
	s_addc_u32 s15, s23, s25
	s_lshl_b64 s[24:25], s[16:17], 3
	v_and_b32_e32 v3, 0x7fc, v4
	s_add_u32 s4, s4, s24
	s_addc_u32 s15, s15, s25
	v_add_co_u32 v1, s4, s4, v5
	s_delay_alu instid0(VALU_DEP_1)
	v_add_co_ci_u32_e64 v2, null, s15, 0, s4
	s_mul_hi_i32 s15, s18, 24
	s_mul_i32 s30, s18, 24
	s_lshl_b64 s[24:25], s[18:19], 5
	s_lshl_b64 s[26:27], s[18:19], 4
	;; [unrolled: 1-line block ×3, first 2 shown]
	s_lshl_b32 s31, s10, 3
	s_lshl_b32 s33, s10, 5
	;; [unrolled: 1-line block ×3, first 2 shown]
	s_mul_i32 s36, s10, 24
	s_mov_b32 s35, 0
	s_mov_b32 s37, 0
	s_set_inst_prefetch_distance 0x1
	.p2align	6
.LBB27_9:                               ; =>This Inner Loop Header: Depth=1
	v_add_co_u32 v6, vcc_lo, v1, s28
	v_add_co_ci_u32_e32 v7, vcc_lo, s29, v2, vcc_lo
	v_add_co_u32 v8, vcc_lo, v1, s26
	v_add_co_ci_u32_e32 v9, vcc_lo, s27, v2, vcc_lo
	;; [unrolled: 2-line block ×3, first 2 shown]
	s_clause 0x3
	global_load_b64 v[12:13], v[1:2], off
	global_load_b64 v[6:7], v[6:7], off
	;; [unrolled: 1-line block ×4, first 2 shown]
	s_add_i32 s37, s37, 4
	v_add_co_u32 v1, s4, v1, s24
	v_cmp_eq_u32_e32 vcc_lo, s37, v3
	v_add_nc_u32_e32 v14, s31, v5
	v_add_nc_u32_e32 v15, s34, v5
	;; [unrolled: 1-line block ×3, first 2 shown]
	v_add_co_ci_u32_e64 v2, s4, s25, v2, s4
	s_or_b32 s35, vcc_lo, s35
	s_waitcnt vmcnt(3)
	ds_store_b64 v5, v[12:13]
	v_add_nc_u32_e32 v5, s33, v5
	s_waitcnt vmcnt(2)
	ds_store_b64 v14, v[6:7]
	s_waitcnt vmcnt(1)
	ds_store_b64 v15, v[8:9]
	;; [unrolled: 2-line block ×3, first 2 shown]
	s_and_not1_b32 exec_lo, exec_lo, s35
	s_cbranch_execnz .LBB27_9
; %bb.10:
	s_set_inst_prefetch_distance 0x2
	s_or_b32 exec_lo, exec_lo, s35
.LBB27_11:
	s_delay_alu instid0(SALU_CYCLE_1) | instskip(SKIP_2) | instid1(VALU_DEP_1)
	s_or_b32 exec_lo, exec_lo, s5
	v_and_b32_e32 v4, 3, v4
	s_mov_b32 s5, 0
	v_cmp_ne_u32_e32 vcc_lo, 0, v4
	s_and_b32 exec_lo, exec_lo, vcc_lo
	s_cbranch_execz .LBB27_14
; %bb.12:
	v_mad_i64_i32 v[1:2], null, s18, v3, 0
	s_lshl_b64 s[16:17], s[16:17], 3
	s_lshl_b64 s[6:7], s[6:7], 3
	s_lshl_b32 s15, s10, 3
	s_add_u32 s4, s6, s16
	v_lshlrev_b32_e32 v5, 3, v0
	s_addc_u32 s6, s7, s17
	s_delay_alu instid0(VALU_DEP_2) | instskip(SKIP_1) | instid1(VALU_DEP_2)
	v_lshlrev_b64 v[1:2], 3, v[1:2]
	v_mul_lo_u32 v3, v3, s10
	v_add_co_u32 v1, vcc_lo, s4, v1
	s_delay_alu instid0(VALU_DEP_3) | instskip(NEXT) | instid1(VALU_DEP_3)
	v_add_co_ci_u32_e32 v2, vcc_lo, s6, v2, vcc_lo
	v_add_lshl_u32 v3, v0, v3, 3
	s_delay_alu instid0(VALU_DEP_3) | instskip(NEXT) | instid1(VALU_DEP_3)
	v_add_co_u32 v1, vcc_lo, v1, v5
	v_add_co_ci_u32_e32 v2, vcc_lo, 0, v2, vcc_lo
	s_lshl_b64 s[6:7], s[18:19], 3
	s_waitcnt lgkmcnt(0)
	s_delay_alu instid0(VALU_DEP_2) | instskip(NEXT) | instid1(VALU_DEP_2)
	v_add_co_u32 v1, vcc_lo, s22, v1
	v_add_co_ci_u32_e32 v2, vcc_lo, s23, v2, vcc_lo
.LBB27_13:                              ; =>This Inner Loop Header: Depth=1
	global_load_b64 v[5:6], v[1:2], off
	v_add_nc_u32_e32 v4, -1, v4
	v_add_co_u32 v1, vcc_lo, v1, s6
	v_add_co_ci_u32_e32 v2, vcc_lo, s7, v2, vcc_lo
	s_delay_alu instid0(VALU_DEP_3) | instskip(NEXT) | instid1(VALU_DEP_1)
	v_cmp_eq_u32_e64 s4, 0, v4
	s_or_b32 s5, s4, s5
	s_waitcnt vmcnt(0)
	ds_store_b64 v3, v[5:6]
	v_add_nc_u32_e32 v3, s15, v3
	s_and_not1_b32 exec_lo, exec_lo, s5
	s_cbranch_execnz .LBB27_13
.LBB27_14:
	s_or_b32 exec_lo, exec_lo, s11
	s_waitcnt lgkmcnt(0)
	s_barrier
	buffer_gl0_inv
                                        ; implicit-def: $vgpr1
	s_and_saveexec_b32 s4, s3
	s_delay_alu instid0(SALU_CYCLE_1)
	s_xor_b32 s3, exec_lo, s4
; %bb.15:
	v_mad_u64_u32 v[1:2], null, v0, s10, v[0:1]
; %bb.16:
	s_and_not1_saveexec_b32 s4, s3
	s_cbranch_execz .LBB27_29
; %bb.17:
	s_delay_alu instid0(VALU_DEP_1) | instskip(SKIP_1) | instid1(VALU_DEP_1)
	v_mad_u64_u32 v[1:2], null, v0, s10, v[0:1]
	s_cmpk_lg_i32 s9, 0x84
	v_lshlrev_b32_e32 v6, 3, v1
	s_cbranch_scc0 .LBB27_27
; %bb.18:
	ds_load_b64 v[2:3], v6
	s_waitcnt lgkmcnt(0)
	v_cmp_neq_f32_e32 vcc_lo, 0, v2
	v_cmp_neq_f32_e64 s3, 0, v3
	s_delay_alu instid0(VALU_DEP_1) | instskip(NEXT) | instid1(SALU_CYCLE_1)
	s_or_b32 s3, vcc_lo, s3
	s_and_saveexec_b32 s5, s3
	s_delay_alu instid0(SALU_CYCLE_1)
	s_xor_b32 s3, exec_lo, s5
	s_cbranch_execz .LBB27_24
; %bb.19:
	v_cmp_gt_f32_e32 vcc_lo, 0, v2
	v_cndmask_b32_e64 v4, v2, -v2, vcc_lo
	v_cmp_gt_f32_e32 vcc_lo, 0, v3
	v_cndmask_b32_e64 v5, v3, -v3, vcc_lo
	s_delay_alu instid0(VALU_DEP_1) | instskip(SKIP_1) | instid1(SALU_CYCLE_1)
	v_cmp_ngt_f32_e32 vcc_lo, v4, v5
                                        ; implicit-def: $vgpr4
	s_and_saveexec_b32 s5, vcc_lo
	s_xor_b32 s5, exec_lo, s5
	s_cbranch_execz .LBB27_21
; %bb.20:
	v_div_scale_f32 v4, null, v3, v3, v2
	v_div_scale_f32 v8, vcc_lo, v2, v3, v2
	s_delay_alu instid0(VALU_DEP_2) | instskip(SKIP_2) | instid1(VALU_DEP_1)
	v_rcp_f32_e32 v5, v4
	s_waitcnt_depctr 0xfff
	v_fma_f32 v7, -v4, v5, 1.0
	v_fmac_f32_e32 v5, v7, v5
	s_delay_alu instid0(VALU_DEP_1) | instskip(NEXT) | instid1(VALU_DEP_1)
	v_mul_f32_e32 v7, v8, v5
	v_fma_f32 v9, -v4, v7, v8
	s_delay_alu instid0(VALU_DEP_1) | instskip(NEXT) | instid1(VALU_DEP_1)
	v_fmac_f32_e32 v7, v9, v5
	v_fma_f32 v4, -v4, v7, v8
	s_delay_alu instid0(VALU_DEP_1) | instskip(NEXT) | instid1(VALU_DEP_1)
	v_div_fmas_f32 v4, v4, v5, v7
	v_div_fixup_f32 v4, v4, v3, v2
	s_delay_alu instid0(VALU_DEP_1) | instskip(NEXT) | instid1(VALU_DEP_1)
	v_fmac_f32_e32 v3, v2, v4
	v_div_scale_f32 v2, null, v3, v3, 1.0
	v_div_scale_f32 v8, vcc_lo, 1.0, v3, 1.0
	s_delay_alu instid0(VALU_DEP_2) | instskip(SKIP_2) | instid1(VALU_DEP_1)
	v_rcp_f32_e32 v5, v2
	s_waitcnt_depctr 0xfff
	v_fma_f32 v7, -v2, v5, 1.0
	v_fmac_f32_e32 v5, v7, v5
	s_delay_alu instid0(VALU_DEP_1) | instskip(NEXT) | instid1(VALU_DEP_1)
	v_mul_f32_e32 v7, v8, v5
	v_fma_f32 v9, -v2, v7, v8
	s_delay_alu instid0(VALU_DEP_1) | instskip(NEXT) | instid1(VALU_DEP_1)
	v_fmac_f32_e32 v7, v9, v5
	v_fma_f32 v2, -v2, v7, v8
	s_delay_alu instid0(VALU_DEP_1) | instskip(NEXT) | instid1(VALU_DEP_1)
	v_div_fmas_f32 v2, v2, v5, v7
	v_div_fixup_f32 v2, v2, v3, 1.0
	s_delay_alu instid0(VALU_DEP_1)
	v_mul_f32_e32 v4, v4, v2
	v_xor_b32_e32 v5, 0x80000000, v2
                                        ; implicit-def: $vgpr2_vgpr3
.LBB27_21:
	s_and_not1_saveexec_b32 s5, s5
	s_cbranch_execz .LBB27_23
; %bb.22:
	v_div_scale_f32 v4, null, v2, v2, v3
	v_div_scale_f32 v8, vcc_lo, v3, v2, v3
	s_delay_alu instid0(VALU_DEP_2) | instskip(SKIP_2) | instid1(VALU_DEP_1)
	v_rcp_f32_e32 v5, v4
	s_waitcnt_depctr 0xfff
	v_fma_f32 v7, -v4, v5, 1.0
	v_fmac_f32_e32 v5, v7, v5
	s_delay_alu instid0(VALU_DEP_1) | instskip(NEXT) | instid1(VALU_DEP_1)
	v_mul_f32_e32 v7, v8, v5
	v_fma_f32 v9, -v4, v7, v8
	s_delay_alu instid0(VALU_DEP_1) | instskip(NEXT) | instid1(VALU_DEP_1)
	v_fmac_f32_e32 v7, v9, v5
	v_fma_f32 v4, -v4, v7, v8
	s_delay_alu instid0(VALU_DEP_1) | instskip(NEXT) | instid1(VALU_DEP_1)
	v_div_fmas_f32 v4, v4, v5, v7
	v_div_fixup_f32 v5, v4, v2, v3
	s_delay_alu instid0(VALU_DEP_1) | instskip(NEXT) | instid1(VALU_DEP_1)
	v_fmac_f32_e32 v2, v3, v5
	v_div_scale_f32 v3, null, v2, v2, 1.0
	s_delay_alu instid0(VALU_DEP_1) | instskip(SKIP_2) | instid1(VALU_DEP_1)
	v_rcp_f32_e32 v4, v3
	s_waitcnt_depctr 0xfff
	v_fma_f32 v7, -v3, v4, 1.0
	v_fmac_f32_e32 v4, v7, v4
	v_div_scale_f32 v7, vcc_lo, 1.0, v2, 1.0
	s_delay_alu instid0(VALU_DEP_1) | instskip(NEXT) | instid1(VALU_DEP_1)
	v_mul_f32_e32 v8, v7, v4
	v_fma_f32 v9, -v3, v8, v7
	s_delay_alu instid0(VALU_DEP_1) | instskip(NEXT) | instid1(VALU_DEP_1)
	v_fmac_f32_e32 v8, v9, v4
	v_fma_f32 v3, -v3, v8, v7
	s_delay_alu instid0(VALU_DEP_1) | instskip(NEXT) | instid1(VALU_DEP_1)
	v_div_fmas_f32 v3, v3, v4, v8
	v_div_fixup_f32 v4, v3, v2, 1.0
	s_delay_alu instid0(VALU_DEP_1)
	v_mul_f32_e64 v5, v5, -v4
.LBB27_23:
	s_or_b32 exec_lo, exec_lo, s5
	ds_store_b64 v6, v[4:5]
.LBB27_24:
	s_and_not1_saveexec_b32 s3, s3
	s_cbranch_execz .LBB27_26
; %bb.25:
	v_dual_mov_b32 v2, 1.0 :: v_dual_mov_b32 v3, 0
	ds_store_b64 v6, v[2:3]
.LBB27_26:
	s_or_b32 exec_lo, exec_lo, s3
	s_cbranch_execz .LBB27_28
	s_branch .LBB27_29
.LBB27_27:
.LBB27_28:
	v_dual_mov_b32 v2, 1.0 :: v_dual_mov_b32 v3, 0
	ds_store_b64 v6, v[2:3]
.LBB27_29:
	s_or_b32 exec_lo, exec_lo, s4
	s_delay_alu instid0(VALU_DEP_1)
	v_lshlrev_b32_e32 v1, 3, v1
	v_add_lshl_u32 v2, v0, s10, 3
	s_lshl_b32 s11, s10, 3
	s_mov_b32 s3, 8
	s_add_i32 s4, s11, 8
	s_mov_b32 s5, 0
	s_waitcnt lgkmcnt(0)
	s_barrier
	buffer_gl0_inv
	s_branch .LBB27_31
.LBB27_30:                              ;   in Loop: Header=BB27_31 Depth=1
	s_set_inst_prefetch_distance 0x2
	v_add_nc_u32_e32 v2, s11, v2
	s_add_i32 s3, s3, s4
	s_cmp_eq_u32 s5, s10
	s_barrier
	buffer_gl0_inv
	s_cbranch_scc1 .LBB27_40
.LBB27_31:                              ; =>This Loop Header: Depth=1
                                        ;     Child Loop BB27_36 Depth 2
	s_mul_i32 s7, s5, s10
	v_dual_mov_b32 v4, 0 :: v_dual_mov_b32 v5, 0
	v_add_lshl_u32 v3, s7, v0, 3
	s_mov_b32 s6, exec_lo
	v_cmpx_lt_u32_e64 s5, v0
	s_cbranch_execz .LBB27_33
; %bb.32:                               ;   in Loop: Header=BB27_31 Depth=1
	s_add_i32 s7, s7, s5
	s_delay_alu instid0(SALU_CYCLE_1) | instskip(NEXT) | instid1(SALU_CYCLE_1)
	s_lshl_b32 s7, s7, 3
	v_mov_b32_e32 v6, s7
	ds_load_b64 v[4:5], v3
	ds_load_b64 v[6:7], v6
	s_waitcnt lgkmcnt(0)
	v_mul_f32_e32 v8, v7, v5
	v_mul_f32_e32 v5, v6, v5
	s_delay_alu instid0(VALU_DEP_2) | instskip(NEXT) | instid1(VALU_DEP_1)
	v_fma_f32 v6, v6, v4, -v8
	v_dual_fmac_f32 v5, v7, v4 :: v_dual_add_f32 v4, 0, v6
	s_delay_alu instid0(VALU_DEP_1)
	v_add_f32_e32 v5, 0, v5
.LBB27_33:                              ;   in Loop: Header=BB27_31 Depth=1
	s_or_b32 exec_lo, exec_lo, s6
	s_add_i32 s5, s5, 1
	s_delay_alu instid0(SALU_CYCLE_1)
	s_cmp_ge_i32 s5, s10
	s_barrier
	buffer_gl0_inv
	s_cbranch_scc1 .LBB27_30
; %bb.34:                               ;   in Loop: Header=BB27_31 Depth=1
	v_mov_b32_e32 v6, v2
	s_mov_b32 s6, s3
	s_mov_b32 s7, s5
	s_set_inst_prefetch_distance 0x1
	s_branch .LBB27_36
	.p2align	6
.LBB27_35:                              ;   in Loop: Header=BB27_36 Depth=2
	s_or_b32 exec_lo, exec_lo, s9
	v_add_nc_u32_e32 v6, s11, v6
	s_add_i32 s7, s7, 1
	s_add_i32 s6, s6, 8
	s_cmp_ge_i32 s7, s10
	s_barrier
	buffer_gl0_inv
	s_cbranch_scc1 .LBB27_30
.LBB27_36:                              ;   Parent Loop BB27_31 Depth=1
                                        ; =>  This Inner Loop Header: Depth=2
	s_mov_b32 s9, exec_lo
	v_cmpx_eq_u32_e64 s7, v0
	s_cbranch_execz .LBB27_38
; %bb.37:                               ;   in Loop: Header=BB27_36 Depth=2
	ds_load_b64 v[7:8], v1
	s_waitcnt lgkmcnt(0)
	v_dual_sub_f32 v10, 0, v4 :: v_dual_mul_f32 v11, v5, v7
	v_mul_f32_e32 v9, v5, v8
	s_delay_alu instid0(VALU_DEP_1) | instskip(NEXT) | instid1(VALU_DEP_3)
	v_fmac_f32_e32 v9, v10, v7
	v_fma_f32 v10, -v4, v8, -v11
	ds_store_b64 v3, v[9:10]
.LBB27_38:                              ;   in Loop: Header=BB27_36 Depth=2
	s_or_b32 exec_lo, exec_lo, s9
	s_delay_alu instid0(SALU_CYCLE_1)
	s_mov_b32 s9, exec_lo
	s_waitcnt lgkmcnt(0)
	s_barrier
	buffer_gl0_inv
	v_cmpx_lt_u32_e64 s7, v0
	s_cbranch_execz .LBB27_35
; %bb.39:                               ;   in Loop: Header=BB27_36 Depth=2
	v_mov_b32_e32 v9, s6
	ds_load_b64 v[7:8], v6
	ds_load_b64 v[9:10], v9
	s_waitcnt lgkmcnt(0)
	v_mul_f32_e32 v11, v10, v8
	v_mul_f32_e32 v8, v9, v8
	s_delay_alu instid0(VALU_DEP_2) | instskip(NEXT) | instid1(VALU_DEP_2)
	v_fma_f32 v9, v9, v7, -v11
	v_fmac_f32_e32 v8, v10, v7
	s_delay_alu instid0(VALU_DEP_1)
	v_dual_add_f32 v4, v4, v9 :: v_dual_add_f32 v5, v5, v8
	s_branch .LBB27_35
.LBB27_40:
	s_and_saveexec_b32 s3, s2
	s_cbranch_execz .LBB27_53
; %bb.41:
	s_clause 0x1
	s_load_b64 s[4:5], s[0:1], 0x58
	s_load_b32 s2, s[0:1], 0x48
	v_lshlrev_b32_e32 v3, 3, v0
	s_waitcnt lgkmcnt(0)
	s_mul_i32 s0, s14, s5
	s_mul_hi_u32 s1, s14, s4
	s_mul_i32 s4, s14, s4
	s_add_i32 s5, s1, s0
	s_cmpk_lg_i32 s8, 0x7a
	s_mov_b32 s0, -1
	s_cbranch_scc0 .LBB27_45
; %bb.42:
	s_add_i32 s0, s10, -1
	s_ashr_i32 s3, s2, 31
	s_mul_hi_u32 s6, s2, s0
	s_mul_i32 s1, s3, s0
	s_mul_i32 s0, s2, s0
	s_add_i32 s1, s6, s1
	s_lshl_b64 s[6:7], s[4:5], 3
	s_lshl_b64 s[0:1], s[0:1], 3
	v_lshlrev_b32_e32 v1, 3, v0
	s_add_u32 s6, s6, s0
	s_addc_u32 s7, s7, s1
	s_lshl_b64 s[0:1], s[20:21], 3
	s_delay_alu instid0(SALU_CYCLE_1)
	s_add_u32 s0, s6, s0
	s_addc_u32 s1, s7, s1
	v_sub_nc_u32_e32 v4, s11, v1
	s_add_u32 s0, s12, s0
	s_addc_u32 s1, s13, s1
	v_add_co_u32 v1, s0, s0, v1
	s_lshl_b64 s[6:7], s[2:3], 3
	v_add_co_ci_u32_e64 v2, null, s1, 0, s0
	v_add_nc_u32_e32 v4, -8, v4
	s_sub_u32 s1, 0, s6
	s_subb_u32 s6, 0, s7
	s_mov_b32 s3, 0
	s_mov_b32 s7, s10
.LBB27_43:                              ; =>This Inner Loop Header: Depth=1
	ds_load_b64 v[5:6], v4
	s_add_i32 s7, s7, -1
	v_add_nc_u32_e32 v4, s11, v4
	v_cmp_le_i32_e32 vcc_lo, s7, v0
	s_or_b32 s3, vcc_lo, s3
	s_waitcnt lgkmcnt(0)
	global_store_b64 v[1:2], v[5:6], off
	v_add_co_u32 v1, s0, v1, s1
	s_delay_alu instid0(VALU_DEP_1)
	v_add_co_ci_u32_e64 v2, s0, s6, v2, s0
	s_and_not1_b32 exec_lo, exec_lo, s3
	s_cbranch_execnz .LBB27_43
; %bb.44:
	s_or_b32 exec_lo, exec_lo, s3
	s_mov_b32 s0, 0
.LBB27_45:
	s_delay_alu instid0(SALU_CYCLE_1)
	s_and_b32 vcc_lo, exec_lo, s0
	s_cbranch_vccz .LBB27_53
; %bb.46:
	v_dual_mov_b32 v4, 0 :: v_dual_add_nc_u32 v5, 1, v0
	s_ashr_i32 s3, s2, 31
	s_mov_b32 s1, exec_lo
	v_cmpx_lt_u32_e32 2, v0
	s_cbranch_execz .LBB27_50
; %bb.47:
	s_lshl_b64 s[6:7], s[20:21], 3
	v_and_b32_e32 v4, 0x7fc, v5
	s_add_u32 s0, s12, s6
	s_addc_u32 s8, s13, s7
	s_lshl_b64 s[6:7], s[4:5], 3
	v_mov_b32_e32 v6, v3
	s_add_u32 s0, s0, s6
	s_addc_u32 s6, s8, s7
	v_add_co_u32 v1, s0, s0, v3
	s_delay_alu instid0(VALU_DEP_1)
	v_add_co_ci_u32_e64 v2, null, s6, 0, s0
	s_mul_hi_i32 s16, s2, 24
	s_mul_i32 s17, s2, 24
	s_lshl_b64 s[6:7], s[2:3], 5
	s_lshl_b64 s[8:9], s[2:3], 4
	;; [unrolled: 1-line block ×3, first 2 shown]
	s_lshl_b32 s18, s10, 5
	s_lshl_b32 s19, s10, 4
	s_mul_i32 s23, s10, 24
	s_mov_b32 s22, 0
	s_mov_b32 s24, 0
	s_set_inst_prefetch_distance 0x1
	.p2align	6
.LBB27_48:                              ; =>This Inner Loop Header: Depth=1
	ds_load_b64 v[7:8], v6
	v_add_nc_u32_e32 v11, s11, v6
	v_add_nc_u32_e32 v13, s19, v6
	;; [unrolled: 1-line block ×3, first 2 shown]
	v_add_co_u32 v9, vcc_lo, v1, s14
	ds_load_b64 v[11:12], v11
	ds_load_b64 v[13:14], v13
	ds_load_b64 v[15:16], v15
	v_add_co_ci_u32_e32 v10, vcc_lo, s15, v2, vcc_lo
	v_add_co_u32 v17, vcc_lo, v1, s8
	v_add_co_ci_u32_e32 v18, vcc_lo, s9, v2, vcc_lo
	v_add_co_u32 v19, vcc_lo, v1, s17
	s_add_i32 s24, s24, 4
	v_add_co_ci_u32_e32 v20, vcc_lo, s16, v2, vcc_lo
	v_cmp_eq_u32_e32 vcc_lo, s24, v4
	v_add_nc_u32_e32 v6, s18, v6
	s_waitcnt lgkmcnt(3)
	global_store_b64 v[1:2], v[7:8], off
	v_add_co_u32 v1, s0, v1, s6
	s_delay_alu instid0(VALU_DEP_1)
	v_add_co_ci_u32_e64 v2, s0, s7, v2, s0
	s_or_b32 s22, vcc_lo, s22
	s_waitcnt lgkmcnt(2)
	global_store_b64 v[9:10], v[11:12], off
	s_waitcnt lgkmcnt(1)
	global_store_b64 v[17:18], v[13:14], off
	;; [unrolled: 2-line block ×3, first 2 shown]
	s_and_not1_b32 exec_lo, exec_lo, s22
	s_cbranch_execnz .LBB27_48
; %bb.49:
	s_set_inst_prefetch_distance 0x2
	s_or_b32 exec_lo, exec_lo, s22
.LBB27_50:
	s_delay_alu instid0(SALU_CYCLE_1) | instskip(SKIP_2) | instid1(VALU_DEP_1)
	s_or_b32 exec_lo, exec_lo, s1
	v_and_b32_e32 v5, 3, v5
	s_mov_b32 s1, 0
	v_cmp_ne_u32_e32 vcc_lo, 0, v5
	s_and_b32 exec_lo, exec_lo, vcc_lo
	s_cbranch_execz .LBB27_53
; %bb.51:
	v_mad_i64_i32 v[1:2], null, s2, v4, 0
	s_lshl_b64 s[4:5], s[4:5], 3
	s_lshl_b64 s[6:7], s[20:21], 3
	v_mul_lo_u32 v4, v4, s10
	s_add_u32 s0, s6, s4
	s_addc_u32 s4, s7, s5
	s_lshl_b64 s[2:3], s[2:3], 3
	s_delay_alu instid0(VALU_DEP_2) | instskip(NEXT) | instid1(VALU_DEP_2)
	v_lshlrev_b64 v[1:2], 3, v[1:2]
	v_add_lshl_u32 v0, v0, v4, 3
	s_delay_alu instid0(VALU_DEP_2) | instskip(NEXT) | instid1(VALU_DEP_3)
	v_add_co_u32 v1, vcc_lo, s0, v1
	v_add_co_ci_u32_e32 v2, vcc_lo, s4, v2, vcc_lo
	s_delay_alu instid0(VALU_DEP_2) | instskip(NEXT) | instid1(VALU_DEP_2)
	v_add_co_u32 v1, vcc_lo, v1, v3
	v_add_co_ci_u32_e32 v2, vcc_lo, 0, v2, vcc_lo
	s_delay_alu instid0(VALU_DEP_2) | instskip(NEXT) | instid1(VALU_DEP_2)
	v_add_co_u32 v1, vcc_lo, s12, v1
	v_add_co_ci_u32_e32 v2, vcc_lo, s13, v2, vcc_lo
.LBB27_52:                              ; =>This Inner Loop Header: Depth=1
	ds_load_b64 v[3:4], v0
	v_add_nc_u32_e32 v5, -1, v5
	v_add_nc_u32_e32 v0, s11, v0
	s_delay_alu instid0(VALU_DEP_2) | instskip(SKIP_4) | instid1(VALU_DEP_1)
	v_cmp_eq_u32_e32 vcc_lo, 0, v5
	s_or_b32 s1, vcc_lo, s1
	s_waitcnt lgkmcnt(0)
	global_store_b64 v[1:2], v[3:4], off
	v_add_co_u32 v1, s0, v1, s2
	v_add_co_ci_u32_e64 v2, s0, s3, v2, s0
	s_and_not1_b32 exec_lo, exec_lo, s1
	s_cbranch_execnz .LBB27_52
.LBB27_53:
	s_nop 0
	s_sendmsg sendmsg(MSG_DEALLOC_VGPRS)
	s_endpgm
	.section	.rodata,"a",@progbits
	.p2align	6, 0x0
	.amdhsa_kernel _ZL30rocblas_trtri_remainder_kernelILi16E19rocblas_complex_numIfEPKPKS1_PKPS1_Ev13rocblas_fill_17rocblas_diagonal_iT1_lillT2_lilli
		.amdhsa_group_segment_fixed_size 8192
		.amdhsa_private_segment_fixed_size 0
		.amdhsa_kernarg_size 100
		.amdhsa_user_sgpr_count 14
		.amdhsa_user_sgpr_dispatch_ptr 0
		.amdhsa_user_sgpr_queue_ptr 0
		.amdhsa_user_sgpr_kernarg_segment_ptr 1
		.amdhsa_user_sgpr_dispatch_id 0
		.amdhsa_user_sgpr_private_segment_size 0
		.amdhsa_wavefront_size32 1
		.amdhsa_uses_dynamic_stack 0
		.amdhsa_enable_private_segment 0
		.amdhsa_system_sgpr_workgroup_id_x 1
		.amdhsa_system_sgpr_workgroup_id_y 0
		.amdhsa_system_sgpr_workgroup_id_z 1
		.amdhsa_system_sgpr_workgroup_info 0
		.amdhsa_system_vgpr_workitem_id 0
		.amdhsa_next_free_vgpr 21
		.amdhsa_next_free_sgpr 38
		.amdhsa_reserve_vcc 1
		.amdhsa_float_round_mode_32 0
		.amdhsa_float_round_mode_16_64 0
		.amdhsa_float_denorm_mode_32 3
		.amdhsa_float_denorm_mode_16_64 3
		.amdhsa_dx10_clamp 1
		.amdhsa_ieee_mode 1
		.amdhsa_fp16_overflow 0
		.amdhsa_workgroup_processor_mode 1
		.amdhsa_memory_ordered 1
		.amdhsa_forward_progress 0
		.amdhsa_shared_vgpr_count 0
		.amdhsa_exception_fp_ieee_invalid_op 0
		.amdhsa_exception_fp_denorm_src 0
		.amdhsa_exception_fp_ieee_div_zero 0
		.amdhsa_exception_fp_ieee_overflow 0
		.amdhsa_exception_fp_ieee_underflow 0
		.amdhsa_exception_fp_ieee_inexact 0
		.amdhsa_exception_int_div_zero 0
	.end_amdhsa_kernel
	.section	.text._ZL30rocblas_trtri_remainder_kernelILi16E19rocblas_complex_numIfEPKPKS1_PKPS1_Ev13rocblas_fill_17rocblas_diagonal_iT1_lillT2_lilli,"axG",@progbits,_ZL30rocblas_trtri_remainder_kernelILi16E19rocblas_complex_numIfEPKPKS1_PKPS1_Ev13rocblas_fill_17rocblas_diagonal_iT1_lillT2_lilli,comdat
.Lfunc_end27:
	.size	_ZL30rocblas_trtri_remainder_kernelILi16E19rocblas_complex_numIfEPKPKS1_PKPS1_Ev13rocblas_fill_17rocblas_diagonal_iT1_lillT2_lilli, .Lfunc_end27-_ZL30rocblas_trtri_remainder_kernelILi16E19rocblas_complex_numIfEPKPKS1_PKPS1_Ev13rocblas_fill_17rocblas_diagonal_iT1_lillT2_lilli
                                        ; -- End function
	.section	.AMDGPU.csdata,"",@progbits
; Kernel info:
; codeLenInByte = 2784
; NumSgprs: 40
; NumVgprs: 21
; ScratchSize: 0
; MemoryBound: 0
; FloatMode: 240
; IeeeMode: 1
; LDSByteSize: 8192 bytes/workgroup (compile time only)
; SGPRBlocks: 4
; VGPRBlocks: 2
; NumSGPRsForWavesPerEU: 40
; NumVGPRsForWavesPerEU: 21
; Occupancy: 16
; WaveLimiterHint : 0
; COMPUTE_PGM_RSRC2:SCRATCH_EN: 0
; COMPUTE_PGM_RSRC2:USER_SGPR: 14
; COMPUTE_PGM_RSRC2:TRAP_HANDLER: 0
; COMPUTE_PGM_RSRC2:TGID_X_EN: 1
; COMPUTE_PGM_RSRC2:TGID_Y_EN: 0
; COMPUTE_PGM_RSRC2:TGID_Z_EN: 1
; COMPUTE_PGM_RSRC2:TIDIG_COMP_CNT: 0
	.section	.text._ZL18rocblas_trtri_fillILi128E19rocblas_complex_numIdEPKPS1_EvP15_rocblas_handle13rocblas_fill_ililT1_llii,"axG",@progbits,_ZL18rocblas_trtri_fillILi128E19rocblas_complex_numIdEPKPS1_EvP15_rocblas_handle13rocblas_fill_ililT1_llii,comdat
	.globl	_ZL18rocblas_trtri_fillILi128E19rocblas_complex_numIdEPKPS1_EvP15_rocblas_handle13rocblas_fill_ililT1_llii ; -- Begin function _ZL18rocblas_trtri_fillILi128E19rocblas_complex_numIdEPKPS1_EvP15_rocblas_handle13rocblas_fill_ililT1_llii
	.p2align	8
	.type	_ZL18rocblas_trtri_fillILi128E19rocblas_complex_numIdEPKPS1_EvP15_rocblas_handle13rocblas_fill_ililT1_llii,@function
_ZL18rocblas_trtri_fillILi128E19rocblas_complex_numIdEPKPS1_EvP15_rocblas_handle13rocblas_fill_ililT1_llii: ; @_ZL18rocblas_trtri_fillILi128E19rocblas_complex_numIdEPKPS1_EvP15_rocblas_handle13rocblas_fill_ililT1_llii
; %bb.0:
	s_clause 0x1
	s_load_b64 s[2:3], s[0:1], 0x10
	s_load_b32 s6, s[0:1], 0x40
	s_mov_b32 s12, s15
	s_mov_b32 s15, 0
	s_delay_alu instid0(SALU_CYCLE_1) | instskip(NEXT) | instid1(SALU_CYCLE_1)
	s_lshl_b64 s[4:5], s[14:15], 7
	v_mov_b32_e32 v5, s5
	v_or_b32_e32 v4, s4, v0
	s_waitcnt lgkmcnt(0)
	s_mul_i32 s4, s6, s3
	s_mul_hi_u32 s5, s6, s2
	s_ashr_i32 s7, s6, 31
	s_add_i32 s4, s5, s4
	s_mul_i32 s7, s7, s2
	s_mul_i32 s8, s6, s2
	s_add_i32 s9, s4, s7
	s_mov_b32 s4, exec_lo
	v_cmpx_gt_u64_e64 s[8:9], v[4:5]
	s_cbranch_execz .LBB28_16
; %bb.1:
	s_clause 0x1
	s_load_b32 s10, s[0:1], 0x18
	s_load_b128 s[4:7], s[0:1], 0x20
	s_mov_b32 s13, s15
	s_load_b64 s[16:17], s[0:1], 0x30
	s_lshl_b64 s[12:13], s[12:13], 3
	v_cvt_f32_u32_e32 v0, s2
	v_cvt_f32_u32_e32 v1, s3
	;; [unrolled: 1-line block ×3, first 2 shown]
	s_delay_alu instid0(VALU_DEP_2) | instskip(NEXT) | instid1(VALU_DEP_2)
	v_fmamk_f32 v0, v1, 0x4f800000, v0
	v_rcp_iflag_f32_e32 v1, v2
	s_delay_alu instid0(VALU_DEP_1)
	v_rcp_f32_e32 v0, v0
	s_waitcnt lgkmcnt(0)
	s_ashr_i32 s11, s10, 31
	s_add_u32 s6, s6, s12
	s_addc_u32 s7, s7, s13
	s_lshl_b64 s[16:17], s[16:17], 4
	s_load_b64 s[12:13], s[6:7], 0x0
	s_load_b64 s[6:7], s[0:1], 0x8
	s_waitcnt_depctr 0xfff
	v_mul_f32_e32 v1, 0x4f7ffffe, v1
	v_mul_f32_e32 v0, 0x5f7ffffc, v0
	s_clause 0x1
	s_load_b32 s20, s[0:1], 0x48
	s_load_b32 s0, s[0:1], 0x54
	s_delay_alu instid0(VALU_DEP_1) | instskip(NEXT) | instid1(VALU_DEP_1)
	v_mul_f32_e32 v2, 0x2f800000, v0
	v_trunc_f32_e32 v2, v2
	s_delay_alu instid0(VALU_DEP_1)
	v_fmamk_f32 v8, v2, 0xcf800000, v0
	v_mov_b32_e32 v0, 0
	s_waitcnt lgkmcnt(0)
	s_add_u32 s14, s12, s16
	s_addc_u32 s16, s13, s17
	s_add_i32 s12, s7, -2
	v_cvt_u32_f32_e32 v1, v1
	v_cvt_f64_i32_e32 v[6:7], s12
	s_add_i32 s12, s7, -1
	s_ashr_i32 s17, s7, 31
	s_mul_hi_i32 s13, s12, s7
	s_mul_i32 s12, s12, s7
	v_cvt_u32_f32_e32 v12, v8
	s_lshl_b64 s[18:19], s[12:13], 2
	v_cvt_u32_f32_e32 v13, v2
	s_add_u32 s1, s18, -7
	s_addc_u32 s18, s19, -1
	s_sub_i32 s19, 0, s2
	s_and_b32 s0, s0, 0xffff
	v_mul_lo_u32 v3, s19, v1
	s_lshr_b64 s[12:13], s[12:13], 1
	s_mul_hi_u32 s19, s0, s20
	s_mul_i32 s20, s0, s20
	s_delay_alu instid0(VALU_DEP_1) | instskip(NEXT) | instid1(VALU_DEP_1)
	v_mul_hi_u32 v3, v1, v3
	v_add_nc_u32_e32 v14, v1, v3
	s_branch .LBB28_3
.LBB28_2:                               ;   in Loop: Header=BB28_3 Depth=1
	v_add_co_u32 v4, vcc_lo, v4, s20
	v_add_co_ci_u32_e32 v5, vcc_lo, s19, v5, vcc_lo
	s_delay_alu instid0(VALU_DEP_1) | instskip(SKIP_1) | instid1(SALU_CYCLE_1)
	v_cmp_le_u64_e32 vcc_lo, s[8:9], v[4:5]
	s_or_b32 s15, vcc_lo, s15
	s_and_not1_b32 exec_lo, exec_lo, s15
	s_cbranch_execz .LBB28_16
.LBB28_3:                               ; =>This Inner Loop Header: Depth=1
	v_or_b32_e32 v1, s3, v5
	s_delay_alu instid0(VALU_DEP_1) | instskip(SKIP_1) | instid1(SALU_CYCLE_1)
	v_cmp_ne_u64_e32 vcc_lo, 0, v[0:1]
                                        ; implicit-def: $vgpr1_vgpr2
	s_and_saveexec_b32 s0, vcc_lo
	s_xor_b32 s21, exec_lo, s0
	s_cbranch_execz .LBB28_5
; %bb.4:                                ;   in Loop: Header=BB28_3 Depth=1
	s_sub_u32 s0, 0, s2
	s_subb_u32 s22, 0, s3
	v_mul_hi_u32 v1, s0, v12
	v_mul_lo_u32 v2, s0, v13
	v_mul_lo_u32 v3, s22, v12
	s_delay_alu instid0(VALU_DEP_2) | instskip(SKIP_1) | instid1(VALU_DEP_2)
	v_add_nc_u32_e32 v1, v1, v2
	v_mul_lo_u32 v2, s0, v12
	v_add_nc_u32_e32 v1, v1, v3
	s_delay_alu instid0(VALU_DEP_2) | instskip(NEXT) | instid1(VALU_DEP_2)
	v_mul_hi_u32 v3, v12, v2
	v_mul_lo_u32 v8, v12, v1
	v_mul_hi_u32 v9, v12, v1
	v_mul_hi_u32 v10, v13, v2
	v_mul_lo_u32 v2, v13, v2
	v_mul_hi_u32 v11, v13, v1
	v_mul_lo_u32 v1, v13, v1
	v_add_co_u32 v3, vcc_lo, v3, v8
	v_add_co_ci_u32_e32 v8, vcc_lo, 0, v9, vcc_lo
	s_delay_alu instid0(VALU_DEP_2) | instskip(NEXT) | instid1(VALU_DEP_2)
	v_add_co_u32 v2, vcc_lo, v3, v2
	v_add_co_ci_u32_e32 v2, vcc_lo, v8, v10, vcc_lo
	v_add_co_ci_u32_e32 v3, vcc_lo, 0, v11, vcc_lo
	s_delay_alu instid0(VALU_DEP_2) | instskip(NEXT) | instid1(VALU_DEP_2)
	v_add_co_u32 v1, vcc_lo, v2, v1
	v_add_co_ci_u32_e32 v2, vcc_lo, 0, v3, vcc_lo
	s_delay_alu instid0(VALU_DEP_2) | instskip(NEXT) | instid1(VALU_DEP_2)
	v_add_co_u32 v1, vcc_lo, v12, v1
	v_add_co_ci_u32_e32 v2, vcc_lo, v13, v2, vcc_lo
	s_delay_alu instid0(VALU_DEP_2) | instskip(SKIP_1) | instid1(VALU_DEP_3)
	v_mul_hi_u32 v3, s0, v1
	v_mul_lo_u32 v9, s22, v1
	v_mul_lo_u32 v8, s0, v2
	s_delay_alu instid0(VALU_DEP_1) | instskip(SKIP_1) | instid1(VALU_DEP_2)
	v_add_nc_u32_e32 v3, v3, v8
	v_mul_lo_u32 v8, s0, v1
	v_add_nc_u32_e32 v3, v3, v9
	s_delay_alu instid0(VALU_DEP_2) | instskip(NEXT) | instid1(VALU_DEP_2)
	v_mul_hi_u32 v9, v1, v8
	v_mul_lo_u32 v10, v1, v3
	v_mul_hi_u32 v11, v1, v3
	v_mul_hi_u32 v15, v2, v8
	v_mul_lo_u32 v8, v2, v8
	v_mul_hi_u32 v16, v2, v3
	v_mul_lo_u32 v3, v2, v3
	v_add_co_u32 v9, vcc_lo, v9, v10
	v_add_co_ci_u32_e32 v10, vcc_lo, 0, v11, vcc_lo
	s_delay_alu instid0(VALU_DEP_2) | instskip(NEXT) | instid1(VALU_DEP_2)
	v_add_co_u32 v8, vcc_lo, v9, v8
	v_add_co_ci_u32_e32 v8, vcc_lo, v10, v15, vcc_lo
	v_add_co_ci_u32_e32 v9, vcc_lo, 0, v16, vcc_lo
	s_delay_alu instid0(VALU_DEP_2) | instskip(NEXT) | instid1(VALU_DEP_2)
	v_add_co_u32 v3, vcc_lo, v8, v3
	v_add_co_ci_u32_e32 v8, vcc_lo, 0, v9, vcc_lo
	s_delay_alu instid0(VALU_DEP_2) | instskip(NEXT) | instid1(VALU_DEP_2)
	v_add_co_u32 v3, vcc_lo, v1, v3
	v_add_co_ci_u32_e32 v15, vcc_lo, v2, v8, vcc_lo
	s_delay_alu instid0(VALU_DEP_2) | instskip(SKIP_1) | instid1(VALU_DEP_3)
	v_mul_hi_u32 v16, v4, v3
	v_mad_u64_u32 v[8:9], null, v5, v3, 0
	v_mad_u64_u32 v[1:2], null, v4, v15, 0
	;; [unrolled: 1-line block ×3, first 2 shown]
	s_delay_alu instid0(VALU_DEP_2) | instskip(NEXT) | instid1(VALU_DEP_3)
	v_add_co_u32 v1, vcc_lo, v16, v1
	v_add_co_ci_u32_e32 v2, vcc_lo, 0, v2, vcc_lo
	s_delay_alu instid0(VALU_DEP_2) | instskip(NEXT) | instid1(VALU_DEP_2)
	v_add_co_u32 v1, vcc_lo, v1, v8
	v_add_co_ci_u32_e32 v1, vcc_lo, v2, v9, vcc_lo
	v_add_co_ci_u32_e32 v2, vcc_lo, 0, v11, vcc_lo
	s_delay_alu instid0(VALU_DEP_2) | instskip(NEXT) | instid1(VALU_DEP_2)
	v_add_co_u32 v3, vcc_lo, v1, v10
	v_add_co_ci_u32_e32 v8, vcc_lo, 0, v2, vcc_lo
	s_delay_alu instid0(VALU_DEP_2) | instskip(SKIP_1) | instid1(VALU_DEP_3)
	v_mul_lo_u32 v9, s3, v3
	v_mad_u64_u32 v[1:2], null, s2, v3, 0
	v_mul_lo_u32 v10, s2, v8
	s_delay_alu instid0(VALU_DEP_2) | instskip(NEXT) | instid1(VALU_DEP_2)
	v_sub_co_u32 v1, vcc_lo, v4, v1
	v_add3_u32 v2, v2, v10, v9
	s_delay_alu instid0(VALU_DEP_1) | instskip(NEXT) | instid1(VALU_DEP_1)
	v_sub_nc_u32_e32 v9, v5, v2
	v_subrev_co_ci_u32_e64 v9, s0, s3, v9, vcc_lo
	v_add_co_u32 v10, s0, v3, 2
	s_delay_alu instid0(VALU_DEP_1) | instskip(SKIP_3) | instid1(VALU_DEP_3)
	v_add_co_ci_u32_e64 v11, s0, 0, v8, s0
	v_sub_co_u32 v15, s0, v1, s2
	v_sub_co_ci_u32_e32 v2, vcc_lo, v5, v2, vcc_lo
	v_subrev_co_ci_u32_e64 v9, s0, 0, v9, s0
	v_cmp_le_u32_e32 vcc_lo, s2, v15
	s_delay_alu instid0(VALU_DEP_3) | instskip(SKIP_1) | instid1(VALU_DEP_4)
	v_cmp_eq_u32_e64 s0, s3, v2
	v_cndmask_b32_e64 v15, 0, -1, vcc_lo
	v_cmp_le_u32_e32 vcc_lo, s3, v9
	v_cndmask_b32_e64 v16, 0, -1, vcc_lo
	v_cmp_le_u32_e32 vcc_lo, s2, v1
	;; [unrolled: 2-line block ×3, first 2 shown]
	v_cndmask_b32_e64 v17, 0, -1, vcc_lo
	v_cmp_eq_u32_e32 vcc_lo, s3, v9
	s_delay_alu instid0(VALU_DEP_2) | instskip(SKIP_3) | instid1(VALU_DEP_3)
	v_cndmask_b32_e64 v1, v17, v1, s0
	v_cndmask_b32_e32 v9, v16, v15, vcc_lo
	v_add_co_u32 v15, vcc_lo, v3, 1
	v_add_co_ci_u32_e32 v16, vcc_lo, 0, v8, vcc_lo
	v_cmp_ne_u32_e32 vcc_lo, 0, v9
	s_delay_alu instid0(VALU_DEP_2) | instskip(SKIP_1) | instid1(VALU_DEP_2)
	v_dual_cndmask_b32 v2, v16, v11 :: v_dual_cndmask_b32 v9, v15, v10
	v_cmp_ne_u32_e32 vcc_lo, 0, v1
	v_dual_cndmask_b32 v2, v8, v2 :: v_dual_cndmask_b32 v1, v3, v9
.LBB28_5:                               ;   in Loop: Header=BB28_3 Depth=1
	s_and_not1_saveexec_b32 s0, s21
; %bb.6:                                ;   in Loop: Header=BB28_3 Depth=1
	v_mul_hi_u32 v1, v4, v14
	s_delay_alu instid0(VALU_DEP_1) | instskip(NEXT) | instid1(VALU_DEP_1)
	v_mul_lo_u32 v2, v1, s2
	v_sub_nc_u32_e32 v2, v4, v2
	s_delay_alu instid0(VALU_DEP_1) | instskip(SKIP_1) | instid1(VALU_DEP_2)
	v_subrev_nc_u32_e32 v8, s2, v2
	v_cmp_le_u32_e32 vcc_lo, s2, v2
	v_dual_cndmask_b32 v2, v2, v8 :: v_dual_add_nc_u32 v3, 1, v1
	s_delay_alu instid0(VALU_DEP_1) | instskip(NEXT) | instid1(VALU_DEP_2)
	v_cndmask_b32_e32 v1, v1, v3, vcc_lo
	v_cmp_le_u32_e32 vcc_lo, s2, v2
	s_delay_alu instid0(VALU_DEP_2) | instskip(NEXT) | instid1(VALU_DEP_1)
	v_dual_mov_b32 v2, v0 :: v_dual_add_nc_u32 v3, 1, v1
	v_cndmask_b32_e32 v1, v1, v3, vcc_lo
; %bb.7:                                ;   in Loop: Header=BB28_3 Depth=1
	s_or_b32 exec_lo, exec_lo, s0
	s_delay_alu instid0(VALU_DEP_2) | instskip(NEXT) | instid1(VALU_DEP_2)
	v_mul_lo_u32 v3, v2, s2
	v_mul_lo_u32 v10, v1, s3
	v_mad_u64_u32 v[8:9], null, v1, s2, 0
	s_cmpk_lt_i32 s6, 0x7a
	s_delay_alu instid0(VALU_DEP_1) | instskip(NEXT) | instid1(VALU_DEP_2)
	v_add3_u32 v3, v9, v10, v3
	v_sub_co_u32 v8, vcc_lo, v4, v8
	s_delay_alu instid0(VALU_DEP_2)
	v_sub_co_ci_u32_e32 v9, vcc_lo, v5, v3, vcc_lo
	s_cbranch_scc1 .LBB28_10
; %bb.8:                                ;   in Loop: Header=BB28_3 Depth=1
	s_mov_b32 s0, 0
	s_cmpk_eq_i32 s6, 0x7a
	s_mov_b32 s21, 0
                                        ; implicit-def: $vgpr10_vgpr11
	s_cbranch_scc0 .LBB28_11
; %bb.9:                                ;   in Loop: Header=BB28_3 Depth=1
	v_lshlrev_b64 v[10:11], 3, v[8:9]
	s_mov_b32 s21, -1
	s_delay_alu instid0(VALU_DEP_1) | instskip(NEXT) | instid1(VALU_DEP_2)
	v_sub_co_u32 v3, vcc_lo, s1, v10
	v_sub_co_ci_u32_e32 v10, vcc_lo, s18, v11, vcc_lo
	s_delay_alu instid0(VALU_DEP_2) | instskip(NEXT) | instid1(VALU_DEP_2)
	v_cvt_f64_u32_e32 v[15:16], v3
	v_cvt_f64_u32_e32 v[10:11], v10
	s_delay_alu instid0(VALU_DEP_1) | instskip(NEXT) | instid1(VALU_DEP_1)
	v_ldexp_f64 v[10:11], v[10:11], 32
	v_add_f64 v[10:11], v[10:11], v[15:16]
	s_delay_alu instid0(VALU_DEP_1) | instskip(SKIP_1) | instid1(VALU_DEP_1)
	v_cmp_gt_f64_e32 vcc_lo, 0x10000000, v[10:11]
	v_cndmask_b32_e64 v3, 0, 1, vcc_lo
	v_lshlrev_b32_e32 v3, 8, v3
	s_delay_alu instid0(VALU_DEP_1) | instskip(SKIP_1) | instid1(VALU_DEP_2)
	v_ldexp_f64 v[10:11], v[10:11], v3
	v_cndmask_b32_e64 v3, 0, 0xffffff80, vcc_lo
	v_rsq_f64_e32 v[15:16], v[10:11]
	v_cmp_class_f64_e64 vcc_lo, v[10:11], 0x260
	s_waitcnt_depctr 0xfff
	v_mul_f64 v[17:18], v[10:11], v[15:16]
	v_mul_f64 v[15:16], v[15:16], 0.5
	s_delay_alu instid0(VALU_DEP_1) | instskip(NEXT) | instid1(VALU_DEP_1)
	v_fma_f64 v[19:20], -v[15:16], v[17:18], 0.5
	v_fma_f64 v[17:18], v[17:18], v[19:20], v[17:18]
	v_fma_f64 v[15:16], v[15:16], v[19:20], v[15:16]
	s_delay_alu instid0(VALU_DEP_2) | instskip(NEXT) | instid1(VALU_DEP_1)
	v_fma_f64 v[19:20], -v[17:18], v[17:18], v[10:11]
	v_fma_f64 v[17:18], v[19:20], v[15:16], v[17:18]
	s_delay_alu instid0(VALU_DEP_1) | instskip(NEXT) | instid1(VALU_DEP_1)
	v_fma_f64 v[19:20], -v[17:18], v[17:18], v[10:11]
	v_fma_f64 v[15:16], v[19:20], v[15:16], v[17:18]
	v_mul_lo_u32 v17, v1, s5
	s_delay_alu instid0(VALU_DEP_2) | instskip(SKIP_1) | instid1(VALU_DEP_2)
	v_ldexp_f64 v[15:16], v[15:16], v3
	v_mul_lo_u32 v3, v2, s4
	v_dual_cndmask_b32 v10, v15, v10 :: v_dual_cndmask_b32 v11, v16, v11
	s_delay_alu instid0(VALU_DEP_1) | instskip(NEXT) | instid1(VALU_DEP_1)
	v_fma_f64 v[10:11], v[10:11], 0.5, -0.5
	v_floor_f64_e32 v[10:11], v[10:11]
	s_delay_alu instid0(VALU_DEP_1) | instskip(NEXT) | instid1(VALU_DEP_1)
	v_add_f64 v[10:11], v[6:7], -v[10:11]
	v_trunc_f64_e32 v[10:11], v[10:11]
	s_delay_alu instid0(VALU_DEP_1) | instskip(NEXT) | instid1(VALU_DEP_1)
	v_ldexp_f64 v[15:16], v[10:11], 0xffffffe0
	v_floor_f64_e32 v[15:16], v[15:16]
	s_delay_alu instid0(VALU_DEP_1) | instskip(SKIP_1) | instid1(VALU_DEP_2)
	v_fma_f64 v[10:11], 0xc1f00000, v[15:16], v[10:11]
	v_cvt_u32_f64_e32 v16, v[15:16]
	v_cvt_u32_f64_e32 v15, v[10:11]
	v_mad_u64_u32 v[10:11], null, v1, s4, 0
	s_delay_alu instid0(VALU_DEP_1) | instskip(NEXT) | instid1(VALU_DEP_4)
	v_add3_u32 v11, v11, v17, v3
	v_mul_lo_u32 v3, v16, s10
	s_delay_alu instid0(VALU_DEP_2) | instskip(SKIP_4) | instid1(VALU_DEP_4)
	v_lshlrev_b64 v[10:11], 4, v[10:11]
	v_sub_co_u32 v23, vcc_lo, s7, v15
	v_sub_co_ci_u32_e32 v21, vcc_lo, s17, v16, vcc_lo
	v_mul_lo_u32 v22, v15, s11
	v_mad_u64_u32 v[17:18], null, v15, s10, 0
	v_add_co_u32 v24, vcc_lo, v23, -1
	s_delay_alu instid0(VALU_DEP_4) | instskip(SKIP_1) | instid1(VALU_DEP_4)
	v_add_co_ci_u32_e32 v25, vcc_lo, -1, v21, vcc_lo
	v_sub_co_u32 v19, vcc_lo, v8, s12
	v_add3_u32 v18, v18, v22, v3
	s_delay_alu instid0(VALU_DEP_3)
	v_mul_lo_u32 v3, v25, v23
	v_mul_lo_u32 v25, v24, v21
	v_mad_u64_u32 v[21:22], null, v24, v23, 0
	v_subrev_co_ci_u32_e32 v20, vcc_lo, s13, v9, vcc_lo
	v_lshlrev_b64 v[17:18], 4, v[17:18]
	v_add_co_u32 v10, vcc_lo, s14, v10
	v_add_co_ci_u32_e32 v11, vcc_lo, s16, v11, vcc_lo
	s_delay_alu instid0(VALU_DEP_4) | instskip(SKIP_1) | instid1(VALU_DEP_4)
	v_lshlrev_b64 v[19:20], 4, v[19:20]
	v_add3_u32 v22, v22, v25, v3
	v_add_co_u32 v3, vcc_lo, v10, v17
	s_delay_alu instid0(VALU_DEP_4) | instskip(NEXT) | instid1(VALU_DEP_3)
	v_add_co_ci_u32_e32 v17, vcc_lo, v11, v18, vcc_lo
	v_lshlrev_b64 v[10:11], 3, v[21:22]
	v_lshlrev_b64 v[15:16], 4, v[15:16]
	s_delay_alu instid0(VALU_DEP_4) | instskip(NEXT) | instid1(VALU_DEP_4)
	v_add_co_u32 v3, vcc_lo, v3, v19
	v_add_co_ci_u32_e32 v17, vcc_lo, v17, v20, vcc_lo
	s_delay_alu instid0(VALU_DEP_4) | instskip(NEXT) | instid1(VALU_DEP_3)
	v_and_b32_e32 v10, -16, v10
	v_add_co_u32 v3, vcc_lo, v3, v15
	s_delay_alu instid0(VALU_DEP_3) | instskip(NEXT) | instid1(VALU_DEP_2)
	v_add_co_ci_u32_e32 v15, vcc_lo, v17, v16, vcc_lo
	v_add_co_u32 v3, vcc_lo, v3, v10
	s_delay_alu instid0(VALU_DEP_2) | instskip(NEXT) | instid1(VALU_DEP_2)
	v_add_co_ci_u32_e32 v11, vcc_lo, v15, v11, vcc_lo
	v_add_co_u32 v10, vcc_lo, v3, 16
	s_delay_alu instid0(VALU_DEP_2)
	v_add_co_ci_u32_e32 v11, vcc_lo, 0, v11, vcc_lo
	s_branch .LBB28_11
.LBB28_10:                              ;   in Loop: Header=BB28_3 Depth=1
	s_mov_b32 s0, -1
	s_mov_b32 s21, 0
                                        ; implicit-def: $vgpr10_vgpr11
.LBB28_11:                              ;   in Loop: Header=BB28_3 Depth=1
	s_and_b32 vcc_lo, exec_lo, s0
	s_cbranch_vccz .LBB28_14
; %bb.12:                               ;   in Loop: Header=BB28_3 Depth=1
	s_cmpk_eq_i32 s6, 0x79
                                        ; implicit-def: $vgpr10_vgpr11
	s_cbranch_scc0 .LBB28_14
; %bb.13:                               ;   in Loop: Header=BB28_3 Depth=1
	v_lshlrev_b64 v[10:11], 3, v[8:9]
	s_mov_b32 s21, -1
	s_delay_alu instid0(VALU_DEP_1) | instskip(NEXT) | instid1(VALU_DEP_2)
	v_cvt_f64_u32_e32 v[15:16], v11
	v_or_b32_e32 v3, 1, v10
	s_delay_alu instid0(VALU_DEP_1) | instskip(NEXT) | instid1(VALU_DEP_3)
	v_cvt_f64_u32_e32 v[10:11], v3
	v_ldexp_f64 v[15:16], v[15:16], 32
	s_delay_alu instid0(VALU_DEP_1) | instskip(NEXT) | instid1(VALU_DEP_1)
	v_add_f64 v[10:11], v[15:16], v[10:11]
	v_cmp_gt_f64_e32 vcc_lo, 0x10000000, v[10:11]
	v_cndmask_b32_e64 v3, 0, 1, vcc_lo
	s_delay_alu instid0(VALU_DEP_1) | instskip(NEXT) | instid1(VALU_DEP_1)
	v_lshlrev_b32_e32 v3, 8, v3
	v_ldexp_f64 v[10:11], v[10:11], v3
	v_cndmask_b32_e64 v3, 0, 0xffffff80, vcc_lo
	s_delay_alu instid0(VALU_DEP_2) | instskip(SKIP_4) | instid1(VALU_DEP_1)
	v_rsq_f64_e32 v[15:16], v[10:11]
	v_cmp_class_f64_e64 vcc_lo, v[10:11], 0x260
	s_waitcnt_depctr 0xfff
	v_mul_f64 v[17:18], v[10:11], v[15:16]
	v_mul_f64 v[15:16], v[15:16], 0.5
	v_fma_f64 v[19:20], -v[15:16], v[17:18], 0.5
	s_delay_alu instid0(VALU_DEP_1) | instskip(SKIP_1) | instid1(VALU_DEP_2)
	v_fma_f64 v[17:18], v[17:18], v[19:20], v[17:18]
	v_fma_f64 v[15:16], v[15:16], v[19:20], v[15:16]
	v_fma_f64 v[19:20], -v[17:18], v[17:18], v[10:11]
	s_delay_alu instid0(VALU_DEP_1) | instskip(NEXT) | instid1(VALU_DEP_1)
	v_fma_f64 v[17:18], v[19:20], v[15:16], v[17:18]
	v_fma_f64 v[19:20], -v[17:18], v[17:18], v[10:11]
	s_delay_alu instid0(VALU_DEP_1) | instskip(SKIP_2) | instid1(VALU_DEP_3)
	v_fma_f64 v[15:16], v[19:20], v[15:16], v[17:18]
	v_mul_lo_u32 v18, v2, s4
	v_mul_lo_u32 v19, v1, s5
	v_ldexp_f64 v[15:16], v[15:16], v3
	v_mad_u64_u32 v[2:3], null, v1, s4, 0
	s_delay_alu instid0(VALU_DEP_1) | instskip(NEXT) | instid1(VALU_DEP_3)
	v_add3_u32 v3, v3, v19, v18
	v_dual_cndmask_b32 v10, v15, v10 :: v_dual_cndmask_b32 v11, v16, v11
	s_delay_alu instid0(VALU_DEP_1) | instskip(NEXT) | instid1(VALU_DEP_1)
	v_add_f64 v[10:11], v[10:11], -1.0
	v_mul_f64 v[10:11], v[10:11], 0.5
	s_delay_alu instid0(VALU_DEP_1) | instskip(NEXT) | instid1(VALU_DEP_1)
	v_trunc_f64_e32 v[10:11], v[10:11]
	v_ldexp_f64 v[15:16], v[10:11], 0xffffffe0
	s_delay_alu instid0(VALU_DEP_1) | instskip(NEXT) | instid1(VALU_DEP_1)
	v_floor_f64_e32 v[15:16], v[15:16]
	v_fma_f64 v[10:11], 0xc1f00000, v[15:16], v[10:11]
	v_cvt_u32_f64_e32 v16, v[15:16]
	s_delay_alu instid0(VALU_DEP_2) | instskip(NEXT) | instid1(VALU_DEP_2)
	v_cvt_u32_f64_e32 v15, v[10:11]
	v_mul_lo_u32 v20, s10, v16
	s_delay_alu instid0(VALU_DEP_2) | instskip(SKIP_3) | instid1(VALU_DEP_3)
	v_mad_u64_u32 v[10:11], null, v15, v15, v[15:16]
	v_mul_lo_u32 v1, v15, v16
	v_mul_lo_u32 v21, s11, v15
	v_mad_u64_u32 v[16:17], null, s10, v15, s[10:11]
	v_add3_u32 v11, v1, v11, v1
	v_lshlrev_b64 v[1:2], 4, v[2:3]
	s_delay_alu instid0(VALU_DEP_3) | instskip(NEXT) | instid1(VALU_DEP_3)
	v_add3_u32 v17, v21, v17, v20
	v_lshrrev_b64 v[10:11], 1, v[10:11]
	s_delay_alu instid0(VALU_DEP_2) | instskip(NEXT) | instid1(VALU_DEP_2)
	v_lshlrev_b64 v[15:16], 4, v[16:17]
	v_sub_co_u32 v8, vcc_lo, v8, v10
	s_delay_alu instid0(VALU_DEP_3) | instskip(SKIP_2) | instid1(VALU_DEP_3)
	v_sub_co_ci_u32_e32 v9, vcc_lo, v9, v11, vcc_lo
	v_add_co_u32 v3, vcc_lo, s14, v1
	v_add_co_ci_u32_e32 v10, vcc_lo, s16, v2, vcc_lo
	v_lshlrev_b64 v[1:2], 4, v[8:9]
	s_delay_alu instid0(VALU_DEP_3) | instskip(NEXT) | instid1(VALU_DEP_3)
	v_add_co_u32 v3, vcc_lo, v3, v15
	v_add_co_ci_u32_e32 v8, vcc_lo, v10, v16, vcc_lo
	s_delay_alu instid0(VALU_DEP_2) | instskip(NEXT) | instid1(VALU_DEP_2)
	v_add_co_u32 v10, vcc_lo, v3, v1
	v_add_co_ci_u32_e32 v11, vcc_lo, v8, v2, vcc_lo
.LBB28_14:                              ;   in Loop: Header=BB28_3 Depth=1
	s_and_b32 vcc_lo, exec_lo, s21
	s_cbranch_vccz .LBB28_2
; %bb.15:                               ;   in Loop: Header=BB28_3 Depth=1
	v_mov_b32_e32 v1, v0
	v_mov_b32_e32 v2, v0
	;; [unrolled: 1-line block ×3, first 2 shown]
	global_store_b128 v[10:11], v[0:3], off
	s_branch .LBB28_2
.LBB28_16:
	s_nop 0
	s_sendmsg sendmsg(MSG_DEALLOC_VGPRS)
	s_endpgm
	.section	.rodata,"a",@progbits
	.p2align	6, 0x0
	.amdhsa_kernel _ZL18rocblas_trtri_fillILi128E19rocblas_complex_numIdEPKPS1_EvP15_rocblas_handle13rocblas_fill_ililT1_llii
		.amdhsa_group_segment_fixed_size 0
		.amdhsa_private_segment_fixed_size 0
		.amdhsa_kernarg_size 328
		.amdhsa_user_sgpr_count 14
		.amdhsa_user_sgpr_dispatch_ptr 0
		.amdhsa_user_sgpr_queue_ptr 0
		.amdhsa_user_sgpr_kernarg_segment_ptr 1
		.amdhsa_user_sgpr_dispatch_id 0
		.amdhsa_user_sgpr_private_segment_size 0
		.amdhsa_wavefront_size32 1
		.amdhsa_uses_dynamic_stack 0
		.amdhsa_enable_private_segment 0
		.amdhsa_system_sgpr_workgroup_id_x 1
		.amdhsa_system_sgpr_workgroup_id_y 0
		.amdhsa_system_sgpr_workgroup_id_z 1
		.amdhsa_system_sgpr_workgroup_info 0
		.amdhsa_system_vgpr_workitem_id 0
		.amdhsa_next_free_vgpr 26
		.amdhsa_next_free_sgpr 23
		.amdhsa_reserve_vcc 1
		.amdhsa_float_round_mode_32 0
		.amdhsa_float_round_mode_16_64 0
		.amdhsa_float_denorm_mode_32 3
		.amdhsa_float_denorm_mode_16_64 3
		.amdhsa_dx10_clamp 1
		.amdhsa_ieee_mode 1
		.amdhsa_fp16_overflow 0
		.amdhsa_workgroup_processor_mode 1
		.amdhsa_memory_ordered 1
		.amdhsa_forward_progress 0
		.amdhsa_shared_vgpr_count 0
		.amdhsa_exception_fp_ieee_invalid_op 0
		.amdhsa_exception_fp_denorm_src 0
		.amdhsa_exception_fp_ieee_div_zero 0
		.amdhsa_exception_fp_ieee_overflow 0
		.amdhsa_exception_fp_ieee_underflow 0
		.amdhsa_exception_fp_ieee_inexact 0
		.amdhsa_exception_int_div_zero 0
	.end_amdhsa_kernel
	.section	.text._ZL18rocblas_trtri_fillILi128E19rocblas_complex_numIdEPKPS1_EvP15_rocblas_handle13rocblas_fill_ililT1_llii,"axG",@progbits,_ZL18rocblas_trtri_fillILi128E19rocblas_complex_numIdEPKPS1_EvP15_rocblas_handle13rocblas_fill_ililT1_llii,comdat
.Lfunc_end28:
	.size	_ZL18rocblas_trtri_fillILi128E19rocblas_complex_numIdEPKPS1_EvP15_rocblas_handle13rocblas_fill_ililT1_llii, .Lfunc_end28-_ZL18rocblas_trtri_fillILi128E19rocblas_complex_numIdEPKPS1_EvP15_rocblas_handle13rocblas_fill_ililT1_llii
                                        ; -- End function
	.section	.AMDGPU.csdata,"",@progbits
; Kernel info:
; codeLenInByte = 2420
; NumSgprs: 25
; NumVgprs: 26
; ScratchSize: 0
; MemoryBound: 0
; FloatMode: 240
; IeeeMode: 1
; LDSByteSize: 0 bytes/workgroup (compile time only)
; SGPRBlocks: 3
; VGPRBlocks: 3
; NumSGPRsForWavesPerEU: 25
; NumVGPRsForWavesPerEU: 26
; Occupancy: 16
; WaveLimiterHint : 0
; COMPUTE_PGM_RSRC2:SCRATCH_EN: 0
; COMPUTE_PGM_RSRC2:USER_SGPR: 14
; COMPUTE_PGM_RSRC2:TRAP_HANDLER: 0
; COMPUTE_PGM_RSRC2:TGID_X_EN: 1
; COMPUTE_PGM_RSRC2:TGID_Y_EN: 0
; COMPUTE_PGM_RSRC2:TGID_Z_EN: 1
; COMPUTE_PGM_RSRC2:TIDIG_COMP_CNT: 0
	.section	.text._ZL26rocblas_trtri_small_kernelILi16E19rocblas_complex_numIdEPKPKS1_PKPS1_Ev13rocblas_fill_17rocblas_diagonal_iT1_lillT2_lilli,"axG",@progbits,_ZL26rocblas_trtri_small_kernelILi16E19rocblas_complex_numIdEPKPKS1_PKPS1_Ev13rocblas_fill_17rocblas_diagonal_iT1_lillT2_lilli,comdat
	.globl	_ZL26rocblas_trtri_small_kernelILi16E19rocblas_complex_numIdEPKPKS1_PKPS1_Ev13rocblas_fill_17rocblas_diagonal_iT1_lillT2_lilli ; -- Begin function _ZL26rocblas_trtri_small_kernelILi16E19rocblas_complex_numIdEPKPKS1_PKPS1_Ev13rocblas_fill_17rocblas_diagonal_iT1_lillT2_lilli
	.p2align	8
	.type	_ZL26rocblas_trtri_small_kernelILi16E19rocblas_complex_numIdEPKPKS1_PKPS1_Ev13rocblas_fill_17rocblas_diagonal_iT1_lillT2_lilli,@function
_ZL26rocblas_trtri_small_kernelILi16E19rocblas_complex_numIdEPKPKS1_PKPS1_Ev13rocblas_fill_17rocblas_diagonal_iT1_lillT2_lilli: ; @_ZL26rocblas_trtri_small_kernelILi16E19rocblas_complex_numIdEPKPKS1_PKPS1_Ev13rocblas_fill_17rocblas_diagonal_iT1_lillT2_lilli
; %bb.0:
	s_load_b128 s[8:11], s[0:1], 0x0
	s_waitcnt lgkmcnt(0)
	s_cmp_lt_i32 s10, 1
	s_cbranch_scc1 .LBB29_51
; %bb.1:
	s_clause 0x1
	s_load_b128 s[16:19], s[0:1], 0x30
	s_load_b64 s[20:21], s[0:1], 0x40
	s_mov_b32 s2, s15
	s_mov_b32 s3, 0
	s_delay_alu instid0(SALU_CYCLE_1)
	s_lshl_b64 s[22:23], s[2:3], 3
	s_waitcnt lgkmcnt(0)
	s_add_u32 s2, s18, s22
	s_addc_u32 s3, s19, s23
	s_load_b64 s[12:13], s[2:3], 0x0
	v_cmp_le_u32_e64 s3, s10, v0
	v_cmp_gt_u32_e64 s2, s10, v0
	s_delay_alu instid0(VALU_DEP_1)
	s_and_saveexec_b32 s11, s2
	s_cbranch_execz .LBB29_14
; %bb.2:
	s_clause 0x1
	s_load_b128 s[4:7], s[0:1], 0x10
	s_load_b32 s18, s[0:1], 0x20
	s_waitcnt lgkmcnt(0)
	s_add_u32 s4, s4, s22
	s_addc_u32 s5, s5, s23
	s_load_b64 s[22:23], s[4:5], 0x0
	s_mul_i32 s4, s14, s17
	s_mul_hi_u32 s5, s14, s16
	s_mul_i32 s16, s14, s16
	s_add_i32 s17, s5, s4
	s_cmpk_lg_i32 s8, 0x7a
	s_mov_b32 s4, -1
	s_cbranch_scc0 .LBB29_6
; %bb.3:
	s_ashr_i32 s19, s18, 31
	s_lshl_b32 s5, s10, 4
	s_ashr_i32 s4, s10, 31
	s_add_u32 s15, s10, -1
	s_addc_u32 s4, s4, -1
	s_mul_i32 s24, s15, s19
	s_mul_hi_u32 s25, s15, s18
	s_mul_i32 s4, s4, s18
	s_add_i32 s24, s25, s24
	s_lshl_b64 s[26:27], s[16:17], 4
	s_add_i32 s25, s24, s4
	s_mul_i32 s24, s15, s18
	v_lshlrev_b32_e32 v1, 4, v0
	s_lshl_b64 s[24:25], s[24:25], 4
	s_delay_alu instid0(SALU_CYCLE_1)
	s_add_u32 s4, s24, s26
	s_addc_u32 s15, s25, s27
	s_lshl_b64 s[24:25], s[6:7], 4
	v_sub_nc_u32_e32 v2, s5, v1
	s_add_u32 s4, s4, s24
	s_addc_u32 s15, s15, s25
	s_waitcnt lgkmcnt(0)
	s_add_u32 s4, s22, s4
	s_addc_u32 s15, s23, s15
	v_add_co_u32 v1, s4, s4, v1
	v_add_nc_u32_e32 v3, -16, v2
	s_lshl_b64 s[24:25], s[18:19], 4
	v_add_co_ci_u32_e64 v2, null, s15, 0, s4
	s_sub_u32 s15, 0, s24
	s_subb_u32 s24, 0, s25
	s_mov_b32 s19, 0
	s_mov_b32 s25, s10
.LBB29_4:                               ; =>This Inner Loop Header: Depth=1
	global_load_b128 v[4:7], v[1:2], off
	s_add_i32 s25, s25, -1
	v_add_co_u32 v1, vcc_lo, v1, s15
	v_cmp_le_i32_e64 s4, s25, v0
	v_add_co_ci_u32_e32 v2, vcc_lo, s24, v2, vcc_lo
	s_delay_alu instid0(VALU_DEP_2)
	s_or_b32 s19, s4, s19
	s_waitcnt vmcnt(0)
	ds_store_2addr_b64 v3, v[4:5], v[6:7] offset1:1
	v_add_nc_u32_e32 v3, s5, v3
	s_and_not1_b32 exec_lo, exec_lo, s19
	s_cbranch_execnz .LBB29_4
; %bb.5:
	s_or_b32 exec_lo, exec_lo, s19
	s_mov_b32 s4, 0
.LBB29_6:
	s_delay_alu instid0(SALU_CYCLE_1)
	s_and_b32 vcc_lo, exec_lo, s4
	s_cbranch_vccz .LBB29_14
; %bb.7:
	v_dual_mov_b32 v3, 0 :: v_dual_add_nc_u32 v4, 1, v0
	s_ashr_i32 s19, s18, 31
	s_mov_b32 s5, exec_lo
	v_cmpx_lt_u32_e32 2, v0
	s_cbranch_execz .LBB29_11
; %bb.8:
	s_lshl_b64 s[24:25], s[6:7], 4
	v_lshlrev_b32_e32 v5, 4, v0
	s_waitcnt lgkmcnt(0)
	s_add_u32 s4, s22, s24
	s_addc_u32 s15, s23, s25
	s_lshl_b64 s[24:25], s[16:17], 4
	v_and_b32_e32 v3, 28, v4
	s_add_u32 s4, s4, s24
	s_addc_u32 s15, s15, s25
	v_add_co_u32 v1, s4, s4, v5
	s_delay_alu instid0(VALU_DEP_1)
	v_add_co_ci_u32_e64 v2, null, s15, 0, s4
	s_mul_hi_i32 s15, s18, 48
	s_mul_i32 s30, s18, 48
	s_lshl_b64 s[24:25], s[18:19], 6
	s_lshl_b64 s[26:27], s[18:19], 5
	;; [unrolled: 1-line block ×3, first 2 shown]
	s_lshl_b32 s31, s10, 4
	s_lshl_b32 s33, s10, 6
	;; [unrolled: 1-line block ×3, first 2 shown]
	s_mul_i32 s36, s10, 48
	s_mov_b32 s35, 0
	s_mov_b32 s37, 0
	s_set_inst_prefetch_distance 0x1
	.p2align	6
.LBB29_9:                               ; =>This Inner Loop Header: Depth=1
	v_add_co_u32 v10, vcc_lo, v1, s28
	v_add_co_ci_u32_e32 v11, vcc_lo, s29, v2, vcc_lo
	v_add_co_u32 v14, vcc_lo, v1, s26
	v_add_co_ci_u32_e32 v15, vcc_lo, s27, v2, vcc_lo
	;; [unrolled: 2-line block ×3, first 2 shown]
	s_clause 0x3
	global_load_b128 v[6:9], v[1:2], off
	global_load_b128 v[10:13], v[10:11], off
	;; [unrolled: 1-line block ×4, first 2 shown]
	s_add_i32 s37, s37, 4
	v_add_co_u32 v1, s4, v1, s24
	v_cmp_eq_u32_e32 vcc_lo, s37, v3
	v_add_nc_u32_e32 v22, s31, v5
	v_add_nc_u32_e32 v23, s34, v5
	;; [unrolled: 1-line block ×3, first 2 shown]
	v_add_co_ci_u32_e64 v2, s4, s25, v2, s4
	s_or_b32 s35, vcc_lo, s35
	s_waitcnt vmcnt(3)
	ds_store_2addr_b64 v5, v[6:7], v[8:9] offset1:1
	v_add_nc_u32_e32 v5, s33, v5
	s_waitcnt vmcnt(2)
	ds_store_2addr_b64 v22, v[10:11], v[12:13] offset1:1
	s_waitcnt vmcnt(1)
	ds_store_2addr_b64 v23, v[14:15], v[16:17] offset1:1
	;; [unrolled: 2-line block ×3, first 2 shown]
	s_and_not1_b32 exec_lo, exec_lo, s35
	s_cbranch_execnz .LBB29_9
; %bb.10:
	s_set_inst_prefetch_distance 0x2
	s_or_b32 exec_lo, exec_lo, s35
.LBB29_11:
	s_delay_alu instid0(SALU_CYCLE_1) | instskip(SKIP_2) | instid1(VALU_DEP_1)
	s_or_b32 exec_lo, exec_lo, s5
	v_and_b32_e32 v4, 3, v4
	s_mov_b32 s5, 0
	v_cmp_ne_u32_e32 vcc_lo, 0, v4
	s_and_b32 exec_lo, exec_lo, vcc_lo
	s_cbranch_execz .LBB29_14
; %bb.12:
	v_mad_i64_i32 v[1:2], null, s18, v3, 0
	s_lshl_b64 s[16:17], s[16:17], 4
	s_lshl_b64 s[6:7], s[6:7], 4
	s_lshl_b32 s15, s10, 4
	s_add_u32 s4, s6, s16
	v_lshlrev_b32_e32 v5, 4, v0
	s_addc_u32 s6, s7, s17
	s_delay_alu instid0(VALU_DEP_2) | instskip(SKIP_1) | instid1(VALU_DEP_2)
	v_lshlrev_b64 v[1:2], 4, v[1:2]
	v_mul_lo_u32 v3, v3, s10
	v_add_co_u32 v1, vcc_lo, s4, v1
	s_delay_alu instid0(VALU_DEP_3) | instskip(NEXT) | instid1(VALU_DEP_3)
	v_add_co_ci_u32_e32 v2, vcc_lo, s6, v2, vcc_lo
	v_add_lshl_u32 v3, v0, v3, 4
	s_delay_alu instid0(VALU_DEP_3) | instskip(NEXT) | instid1(VALU_DEP_3)
	v_add_co_u32 v1, vcc_lo, v1, v5
	v_add_co_ci_u32_e32 v2, vcc_lo, 0, v2, vcc_lo
	s_lshl_b64 s[6:7], s[18:19], 4
	s_waitcnt lgkmcnt(0)
	s_delay_alu instid0(VALU_DEP_2) | instskip(NEXT) | instid1(VALU_DEP_2)
	v_add_co_u32 v1, vcc_lo, s22, v1
	v_add_co_ci_u32_e32 v2, vcc_lo, s23, v2, vcc_lo
.LBB29_13:                              ; =>This Inner Loop Header: Depth=1
	global_load_b128 v[5:8], v[1:2], off
	v_add_nc_u32_e32 v4, -1, v4
	v_add_co_u32 v1, vcc_lo, v1, s6
	v_add_co_ci_u32_e32 v2, vcc_lo, s7, v2, vcc_lo
	s_delay_alu instid0(VALU_DEP_3) | instskip(NEXT) | instid1(VALU_DEP_1)
	v_cmp_eq_u32_e64 s4, 0, v4
	s_or_b32 s5, s4, s5
	s_waitcnt vmcnt(0)
	ds_store_2addr_b64 v3, v[5:6], v[7:8] offset1:1
	v_add_nc_u32_e32 v3, s15, v3
	s_and_not1_b32 exec_lo, exec_lo, s5
	s_cbranch_execnz .LBB29_13
.LBB29_14:
	s_or_b32 exec_lo, exec_lo, s11
	s_waitcnt vmcnt(0) lgkmcnt(0)
	s_waitcnt_vscnt null, 0x0
	; wave barrier
	s_waitcnt lgkmcnt(0)
	buffer_gl0_inv
                                        ; implicit-def: $vgpr9
	s_and_saveexec_b32 s4, s3
	s_delay_alu instid0(SALU_CYCLE_1)
	s_xor_b32 s3, exec_lo, s4
; %bb.15:
	v_mad_u64_u32 v[9:10], null, v0, s10, v[0:1]
; %bb.16:
	s_and_not1_saveexec_b32 s4, s3
	s_cbranch_execz .LBB29_27
; %bb.17:
	v_mad_u64_u32 v[9:10], null, v0, s10, v[0:1]
	s_cmpk_eq_i32 s9, 0x84
	s_delay_alu instid0(VALU_DEP_1)
	v_lshlrev_b32_e32 v10, 4, v9
	s_cbranch_scc1 .LBB29_25
; %bb.18:
	ds_load_b128 v[1:4], v10
	v_mov_b32_e32 v7, 0
	v_dual_mov_b32 v8, 0 :: v_dual_mov_b32 v5, 0
	v_mov_b32_e32 v6, 0x3ff00000
	s_waitcnt lgkmcnt(0)
	v_cmp_neq_f64_e32 vcc_lo, 0, v[1:2]
	v_cmp_neq_f64_e64 s3, 0, v[3:4]
	s_delay_alu instid0(VALU_DEP_1) | instskip(NEXT) | instid1(SALU_CYCLE_1)
	s_or_b32 s3, vcc_lo, s3
	s_and_saveexec_b32 s5, s3
	s_cbranch_execz .LBB29_24
; %bb.19:
	v_cmp_gt_f64_e32 vcc_lo, 0, v[1:2]
	v_cmp_gt_f64_e64 s3, 0, v[3:4]
	v_xor_b32_e32 v5, 0x80000000, v2
	v_xor_b32_e32 v7, 0x80000000, v4
	s_delay_alu instid0(VALU_DEP_2) | instskip(NEXT) | instid1(VALU_DEP_2)
	v_cndmask_b32_e32 v6, v2, v5, vcc_lo
	v_cndmask_b32_e64 v8, v4, v7, s3
	v_cndmask_b32_e32 v5, v1, v1, vcc_lo
	v_cndmask_b32_e64 v7, v3, v3, s3
	s_delay_alu instid0(VALU_DEP_1) | instskip(SKIP_1) | instid1(SALU_CYCLE_1)
	v_cmp_ngt_f64_e32 vcc_lo, v[5:6], v[7:8]
                                        ; implicit-def: $vgpr7_vgpr8
	s_and_saveexec_b32 s3, vcc_lo
	s_xor_b32 s3, exec_lo, s3
	s_cbranch_execz .LBB29_21
; %bb.20:
	v_div_scale_f64 v[5:6], null, v[3:4], v[3:4], v[1:2]
	v_div_scale_f64 v[13:14], vcc_lo, v[1:2], v[3:4], v[1:2]
	s_delay_alu instid0(VALU_DEP_2) | instskip(SKIP_2) | instid1(VALU_DEP_1)
	v_rcp_f64_e32 v[7:8], v[5:6]
	s_waitcnt_depctr 0xfff
	v_fma_f64 v[11:12], -v[5:6], v[7:8], 1.0
	v_fma_f64 v[7:8], v[7:8], v[11:12], v[7:8]
	s_delay_alu instid0(VALU_DEP_1) | instskip(NEXT) | instid1(VALU_DEP_1)
	v_fma_f64 v[11:12], -v[5:6], v[7:8], 1.0
	v_fma_f64 v[7:8], v[7:8], v[11:12], v[7:8]
	s_delay_alu instid0(VALU_DEP_1) | instskip(NEXT) | instid1(VALU_DEP_1)
	v_mul_f64 v[11:12], v[13:14], v[7:8]
	v_fma_f64 v[5:6], -v[5:6], v[11:12], v[13:14]
	s_delay_alu instid0(VALU_DEP_1) | instskip(NEXT) | instid1(VALU_DEP_1)
	v_div_fmas_f64 v[5:6], v[5:6], v[7:8], v[11:12]
	v_div_fixup_f64 v[5:6], v[5:6], v[3:4], v[1:2]
	s_delay_alu instid0(VALU_DEP_1) | instskip(NEXT) | instid1(VALU_DEP_1)
	v_fma_f64 v[1:2], v[1:2], v[5:6], v[3:4]
	v_div_scale_f64 v[3:4], null, v[1:2], v[1:2], 1.0
	s_delay_alu instid0(VALU_DEP_1) | instskip(SKIP_2) | instid1(VALU_DEP_1)
	v_rcp_f64_e32 v[7:8], v[3:4]
	s_waitcnt_depctr 0xfff
	v_fma_f64 v[11:12], -v[3:4], v[7:8], 1.0
	v_fma_f64 v[7:8], v[7:8], v[11:12], v[7:8]
	s_delay_alu instid0(VALU_DEP_1) | instskip(NEXT) | instid1(VALU_DEP_1)
	v_fma_f64 v[11:12], -v[3:4], v[7:8], 1.0
	v_fma_f64 v[7:8], v[7:8], v[11:12], v[7:8]
	v_div_scale_f64 v[11:12], vcc_lo, 1.0, v[1:2], 1.0
	s_delay_alu instid0(VALU_DEP_1) | instskip(NEXT) | instid1(VALU_DEP_1)
	v_mul_f64 v[13:14], v[11:12], v[7:8]
	v_fma_f64 v[3:4], -v[3:4], v[13:14], v[11:12]
	s_delay_alu instid0(VALU_DEP_1) | instskip(NEXT) | instid1(VALU_DEP_1)
	v_div_fmas_f64 v[3:4], v[3:4], v[7:8], v[13:14]
	v_div_fixup_f64 v[7:8], v[3:4], v[1:2], 1.0
                                        ; implicit-def: $vgpr1_vgpr2
	s_delay_alu instid0(VALU_DEP_1)
	v_mul_f64 v[5:6], v[5:6], v[7:8]
	v_xor_b32_e32 v8, 0x80000000, v8
.LBB29_21:
	s_and_not1_saveexec_b32 s3, s3
	s_cbranch_execz .LBB29_23
; %bb.22:
	v_div_scale_f64 v[5:6], null, v[1:2], v[1:2], v[3:4]
	v_div_scale_f64 v[13:14], vcc_lo, v[3:4], v[1:2], v[3:4]
	s_delay_alu instid0(VALU_DEP_2) | instskip(SKIP_2) | instid1(VALU_DEP_1)
	v_rcp_f64_e32 v[7:8], v[5:6]
	s_waitcnt_depctr 0xfff
	v_fma_f64 v[11:12], -v[5:6], v[7:8], 1.0
	v_fma_f64 v[7:8], v[7:8], v[11:12], v[7:8]
	s_delay_alu instid0(VALU_DEP_1) | instskip(NEXT) | instid1(VALU_DEP_1)
	v_fma_f64 v[11:12], -v[5:6], v[7:8], 1.0
	v_fma_f64 v[7:8], v[7:8], v[11:12], v[7:8]
	s_delay_alu instid0(VALU_DEP_1) | instskip(NEXT) | instid1(VALU_DEP_1)
	v_mul_f64 v[11:12], v[13:14], v[7:8]
	v_fma_f64 v[5:6], -v[5:6], v[11:12], v[13:14]
	s_delay_alu instid0(VALU_DEP_1) | instskip(NEXT) | instid1(VALU_DEP_1)
	v_div_fmas_f64 v[5:6], v[5:6], v[7:8], v[11:12]
	v_div_fixup_f64 v[7:8], v[5:6], v[1:2], v[3:4]
	s_delay_alu instid0(VALU_DEP_1) | instskip(NEXT) | instid1(VALU_DEP_1)
	v_fma_f64 v[1:2], v[3:4], v[7:8], v[1:2]
	v_div_scale_f64 v[3:4], null, v[1:2], v[1:2], 1.0
	s_delay_alu instid0(VALU_DEP_1) | instskip(SKIP_2) | instid1(VALU_DEP_1)
	v_rcp_f64_e32 v[5:6], v[3:4]
	s_waitcnt_depctr 0xfff
	v_fma_f64 v[11:12], -v[3:4], v[5:6], 1.0
	v_fma_f64 v[5:6], v[5:6], v[11:12], v[5:6]
	s_delay_alu instid0(VALU_DEP_1) | instskip(NEXT) | instid1(VALU_DEP_1)
	v_fma_f64 v[11:12], -v[3:4], v[5:6], 1.0
	v_fma_f64 v[5:6], v[5:6], v[11:12], v[5:6]
	v_div_scale_f64 v[11:12], vcc_lo, 1.0, v[1:2], 1.0
	s_delay_alu instid0(VALU_DEP_1) | instskip(NEXT) | instid1(VALU_DEP_1)
	v_mul_f64 v[13:14], v[11:12], v[5:6]
	v_fma_f64 v[3:4], -v[3:4], v[13:14], v[11:12]
	s_delay_alu instid0(VALU_DEP_1) | instskip(NEXT) | instid1(VALU_DEP_1)
	v_div_fmas_f64 v[3:4], v[3:4], v[5:6], v[13:14]
	v_div_fixup_f64 v[5:6], v[3:4], v[1:2], 1.0
	s_delay_alu instid0(VALU_DEP_1)
	v_mul_f64 v[7:8], v[7:8], -v[5:6]
.LBB29_23:
	s_or_b32 exec_lo, exec_lo, s3
.LBB29_24:
	s_delay_alu instid0(SALU_CYCLE_1)
	s_or_b32 exec_lo, exec_lo, s5
	s_branch .LBB29_26
.LBB29_25:
	v_mov_b32_e32 v5, 0
	v_dual_mov_b32 v6, 0x3ff00000 :: v_dual_mov_b32 v7, 0
	v_mov_b32_e32 v8, 0
.LBB29_26:
	ds_store_b128 v10, v[5:8]
.LBB29_27:
	s_or_b32 exec_lo, exec_lo, s4
	s_delay_alu instid0(VALU_DEP_1)
	v_lshlrev_b32_e32 v5, 4, v9
	v_add_lshl_u32 v6, v0, s10, 4
	s_lshl_b32 s11, s10, 4
	s_mov_b32 s3, 16
	s_add_i32 s4, s11, 16
	s_mov_b32 s5, 0
	s_waitcnt vmcnt(0) lgkmcnt(0)
	s_waitcnt_vscnt null, 0x0
	; wave barrier
	s_waitcnt lgkmcnt(0)
	buffer_gl0_inv
	s_branch .LBB29_29
.LBB29_28:                              ;   in Loop: Header=BB29_29 Depth=1
	s_set_inst_prefetch_distance 0x2
	v_add_nc_u32_e32 v6, s11, v6
	s_add_i32 s3, s3, s4
	s_cmp_eq_u32 s5, s10
	s_waitcnt vmcnt(0) lgkmcnt(0)
	s_waitcnt_vscnt null, 0x0
	; wave barrier
	buffer_gl0_inv
	s_cbranch_scc1 .LBB29_38
.LBB29_29:                              ; =>This Loop Header: Depth=1
                                        ;     Child Loop BB29_34 Depth 2
	v_mov_b32_e32 v1, 0
	v_mov_b32_e32 v2, 0
	s_mul_i32 s7, s5, s10
	s_mov_b32 s6, exec_lo
	v_add_lshl_u32 v7, s7, v0, 4
	s_delay_alu instid0(VALU_DEP_2)
	v_dual_mov_b32 v4, v2 :: v_dual_mov_b32 v3, v1
	v_cmpx_lt_u32_e64 s5, v0
	s_cbranch_execz .LBB29_31
; %bb.30:                               ;   in Loop: Header=BB29_29 Depth=1
	s_add_i32 s7, s7, s5
	s_delay_alu instid0(SALU_CYCLE_1) | instskip(NEXT) | instid1(SALU_CYCLE_1)
	s_lshl_b32 s7, s7, 4
	v_mov_b32_e32 v1, s7
	ds_load_b128 v[1:4], v1
	ds_load_b128 v[8:11], v7
	s_waitcnt lgkmcnt(0)
	v_mul_f64 v[12:13], v[3:4], v[10:11]
	v_mul_f64 v[10:11], v[1:2], v[10:11]
	s_delay_alu instid0(VALU_DEP_2) | instskip(NEXT) | instid1(VALU_DEP_2)
	v_fma_f64 v[1:2], v[1:2], v[8:9], -v[12:13]
	v_fma_f64 v[3:4], v[3:4], v[8:9], v[10:11]
	s_delay_alu instid0(VALU_DEP_2) | instskip(NEXT) | instid1(VALU_DEP_2)
	v_add_f64 v[1:2], v[1:2], 0
	v_add_f64 v[3:4], v[3:4], 0
.LBB29_31:                              ;   in Loop: Header=BB29_29 Depth=1
	s_or_b32 exec_lo, exec_lo, s6
	s_add_i32 s5, s5, 1
	s_delay_alu instid0(SALU_CYCLE_1)
	s_cmp_ge_i32 s5, s10
	; wave barrier
	buffer_gl0_inv
	s_cbranch_scc1 .LBB29_28
; %bb.32:                               ;   in Loop: Header=BB29_29 Depth=1
	v_mov_b32_e32 v8, v6
	s_mov_b32 s6, s3
	s_mov_b32 s7, s5
	s_set_inst_prefetch_distance 0x1
	s_branch .LBB29_34
	.p2align	6
.LBB29_33:                              ;   in Loop: Header=BB29_34 Depth=2
	s_or_b32 exec_lo, exec_lo, s9
	v_add_nc_u32_e32 v8, s11, v8
	s_add_i32 s7, s7, 1
	s_add_i32 s6, s6, 16
	s_cmp_ge_i32 s7, s10
	s_waitcnt vmcnt(0) lgkmcnt(0)
	s_waitcnt_vscnt null, 0x0
	; wave barrier
	buffer_gl0_inv
	s_cbranch_scc1 .LBB29_28
.LBB29_34:                              ;   Parent Loop BB29_29 Depth=1
                                        ; =>  This Inner Loop Header: Depth=2
	s_mov_b32 s9, exec_lo
	v_cmpx_eq_u32_e64 s7, v0
	s_cbranch_execz .LBB29_36
; %bb.35:                               ;   in Loop: Header=BB29_34 Depth=2
	ds_load_b128 v[9:12], v5
	v_add_f64 v[13:14], -v[1:2], 0
	s_waitcnt lgkmcnt(0)
	v_mul_f64 v[15:16], v[3:4], v[11:12]
	v_mul_f64 v[17:18], v[3:4], v[9:10]
	s_delay_alu instid0(VALU_DEP_2) | instskip(NEXT) | instid1(VALU_DEP_2)
	v_fma_f64 v[9:10], v[13:14], v[9:10], v[15:16]
	v_fma_f64 v[11:12], v[13:14], v[11:12], -v[17:18]
	ds_store_b128 v7, v[9:12]
.LBB29_36:                              ;   in Loop: Header=BB29_34 Depth=2
	s_or_b32 exec_lo, exec_lo, s9
	s_delay_alu instid0(SALU_CYCLE_1)
	s_mov_b32 s9, exec_lo
	s_waitcnt vmcnt(0) lgkmcnt(0)
	s_waitcnt_vscnt null, 0x0
	; wave barrier
	s_waitcnt lgkmcnt(0)
	buffer_gl0_inv
	v_cmpx_lt_u32_e64 s7, v0
	s_cbranch_execz .LBB29_33
; %bb.37:                               ;   in Loop: Header=BB29_34 Depth=2
	v_mov_b32_e32 v13, s6
	ds_load_b128 v[9:12], v8
	ds_load_b128 v[13:16], v13
	s_waitcnt lgkmcnt(0)
	v_mul_f64 v[17:18], v[15:16], v[11:12]
	v_mul_f64 v[11:12], v[13:14], v[11:12]
	s_delay_alu instid0(VALU_DEP_2) | instskip(NEXT) | instid1(VALU_DEP_2)
	v_fma_f64 v[13:14], v[13:14], v[9:10], -v[17:18]
	v_fma_f64 v[9:10], v[15:16], v[9:10], v[11:12]
	s_delay_alu instid0(VALU_DEP_2) | instskip(NEXT) | instid1(VALU_DEP_2)
	v_add_f64 v[1:2], v[1:2], v[13:14]
	v_add_f64 v[3:4], v[3:4], v[9:10]
	s_branch .LBB29_33
.LBB29_38:
	s_and_saveexec_b32 s3, s2
	s_cbranch_execz .LBB29_51
; %bb.39:
	s_clause 0x1
	s_load_b64 s[4:5], s[0:1], 0x58
	s_load_b32 s2, s[0:1], 0x48
	v_lshlrev_b32_e32 v3, 4, v0
	s_waitcnt lgkmcnt(0)
	s_mul_i32 s0, s14, s5
	s_mul_hi_u32 s1, s14, s4
	s_mul_i32 s4, s14, s4
	s_add_i32 s5, s1, s0
	s_cmpk_lg_i32 s8, 0x7a
	s_mov_b32 s0, -1
	s_cbranch_scc0 .LBB29_43
; %bb.40:
	s_add_i32 s0, s10, -1
	s_ashr_i32 s3, s2, 31
	s_mul_hi_u32 s6, s2, s0
	s_mul_i32 s1, s3, s0
	s_mul_i32 s0, s2, s0
	s_add_i32 s1, s6, s1
	s_lshl_b64 s[6:7], s[4:5], 4
	s_lshl_b64 s[0:1], s[0:1], 4
	v_lshlrev_b32_e32 v1, 4, v0
	s_add_u32 s6, s6, s0
	s_addc_u32 s7, s7, s1
	s_lshl_b64 s[0:1], s[20:21], 4
	s_delay_alu instid0(SALU_CYCLE_1)
	s_add_u32 s0, s6, s0
	s_addc_u32 s1, s7, s1
	v_sub_nc_u32_e32 v4, s11, v1
	s_add_u32 s0, s12, s0
	s_addc_u32 s1, s13, s1
	v_add_co_u32 v1, s0, s0, v1
	s_lshl_b64 s[6:7], s[2:3], 4
	v_add_co_ci_u32_e64 v2, null, s1, 0, s0
	v_add_nc_u32_e32 v4, -16, v4
	s_sub_u32 s1, 0, s6
	s_subb_u32 s6, 0, s7
	s_mov_b32 s3, 0
	s_mov_b32 s7, s10
.LBB29_41:                              ; =>This Inner Loop Header: Depth=1
	ds_load_2addr_b64 v[5:8], v4 offset1:1
	s_add_i32 s7, s7, -1
	v_add_nc_u32_e32 v4, s11, v4
	v_cmp_le_i32_e32 vcc_lo, s7, v0
	s_or_b32 s3, vcc_lo, s3
	s_waitcnt lgkmcnt(0)
	global_store_b128 v[1:2], v[5:8], off
	v_add_co_u32 v1, s0, v1, s1
	s_delay_alu instid0(VALU_DEP_1)
	v_add_co_ci_u32_e64 v2, s0, s6, v2, s0
	s_and_not1_b32 exec_lo, exec_lo, s3
	s_cbranch_execnz .LBB29_41
; %bb.42:
	s_or_b32 exec_lo, exec_lo, s3
	s_mov_b32 s0, 0
.LBB29_43:
	s_delay_alu instid0(SALU_CYCLE_1)
	s_and_b32 vcc_lo, exec_lo, s0
	s_cbranch_vccz .LBB29_51
; %bb.44:
	v_dual_mov_b32 v4, 0 :: v_dual_add_nc_u32 v5, 1, v0
	s_ashr_i32 s3, s2, 31
	s_mov_b32 s1, exec_lo
	v_cmpx_lt_u32_e32 2, v0
	s_cbranch_execz .LBB29_48
; %bb.45:
	s_lshl_b64 s[6:7], s[20:21], 4
	v_and_b32_e32 v4, 28, v5
	s_add_u32 s0, s12, s6
	s_addc_u32 s8, s13, s7
	s_lshl_b64 s[6:7], s[4:5], 4
	v_mov_b32_e32 v6, v3
	s_add_u32 s0, s0, s6
	s_addc_u32 s6, s8, s7
	v_add_co_u32 v1, s0, s0, v3
	s_delay_alu instid0(VALU_DEP_1)
	v_add_co_ci_u32_e64 v2, null, s6, 0, s0
	s_mul_hi_i32 s16, s2, 48
	s_mul_i32 s17, s2, 48
	s_lshl_b64 s[6:7], s[2:3], 6
	s_lshl_b64 s[8:9], s[2:3], 5
	;; [unrolled: 1-line block ×3, first 2 shown]
	s_lshl_b32 s18, s10, 6
	s_lshl_b32 s19, s10, 5
	s_mul_i32 s23, s10, 48
	s_mov_b32 s22, 0
	s_mov_b32 s24, 0
	s_set_inst_prefetch_distance 0x1
	.p2align	6
.LBB29_46:                              ; =>This Inner Loop Header: Depth=1
	ds_load_2addr_b64 v[7:10], v6 offset1:1
	v_add_nc_u32_e32 v11, s11, v6
	v_add_nc_u32_e32 v15, s19, v6
	;; [unrolled: 1-line block ×3, first 2 shown]
	v_add_co_u32 v23, vcc_lo, v1, s14
	ds_load_2addr_b64 v[11:14], v11 offset1:1
	ds_load_2addr_b64 v[15:18], v15 offset1:1
	;; [unrolled: 1-line block ×3, first 2 shown]
	v_add_co_ci_u32_e32 v24, vcc_lo, s15, v2, vcc_lo
	v_add_co_u32 v25, vcc_lo, v1, s8
	v_add_co_ci_u32_e32 v26, vcc_lo, s9, v2, vcc_lo
	v_add_co_u32 v27, vcc_lo, v1, s17
	s_add_i32 s24, s24, 4
	v_add_co_ci_u32_e32 v28, vcc_lo, s16, v2, vcc_lo
	v_cmp_eq_u32_e32 vcc_lo, s24, v4
	v_add_nc_u32_e32 v6, s18, v6
	s_waitcnt lgkmcnt(3)
	global_store_b128 v[1:2], v[7:10], off
	v_add_co_u32 v1, s0, v1, s6
	s_delay_alu instid0(VALU_DEP_1)
	v_add_co_ci_u32_e64 v2, s0, s7, v2, s0
	s_or_b32 s22, vcc_lo, s22
	s_waitcnt lgkmcnt(2)
	global_store_b128 v[23:24], v[11:14], off
	s_waitcnt lgkmcnt(1)
	global_store_b128 v[25:26], v[15:18], off
	;; [unrolled: 2-line block ×3, first 2 shown]
	s_and_not1_b32 exec_lo, exec_lo, s22
	s_cbranch_execnz .LBB29_46
; %bb.47:
	s_set_inst_prefetch_distance 0x2
	s_or_b32 exec_lo, exec_lo, s22
.LBB29_48:
	s_delay_alu instid0(SALU_CYCLE_1) | instskip(SKIP_2) | instid1(VALU_DEP_1)
	s_or_b32 exec_lo, exec_lo, s1
	v_and_b32_e32 v5, 3, v5
	s_mov_b32 s1, 0
	v_cmp_ne_u32_e32 vcc_lo, 0, v5
	s_and_b32 exec_lo, exec_lo, vcc_lo
	s_cbranch_execz .LBB29_51
; %bb.49:
	v_mad_i64_i32 v[1:2], null, s2, v4, 0
	s_lshl_b64 s[4:5], s[4:5], 4
	s_lshl_b64 s[6:7], s[20:21], 4
	v_mul_lo_u32 v4, v4, s10
	s_add_u32 s0, s6, s4
	s_addc_u32 s4, s7, s5
	s_lshl_b64 s[2:3], s[2:3], 4
	s_delay_alu instid0(VALU_DEP_2) | instskip(NEXT) | instid1(VALU_DEP_2)
	v_lshlrev_b64 v[1:2], 4, v[1:2]
	v_add_lshl_u32 v0, v0, v4, 4
	s_delay_alu instid0(VALU_DEP_2) | instskip(NEXT) | instid1(VALU_DEP_3)
	v_add_co_u32 v1, vcc_lo, s0, v1
	v_add_co_ci_u32_e32 v2, vcc_lo, s4, v2, vcc_lo
	s_delay_alu instid0(VALU_DEP_2) | instskip(NEXT) | instid1(VALU_DEP_2)
	v_add_co_u32 v1, vcc_lo, v1, v3
	v_add_co_ci_u32_e32 v2, vcc_lo, 0, v2, vcc_lo
	s_delay_alu instid0(VALU_DEP_2) | instskip(NEXT) | instid1(VALU_DEP_2)
	v_add_co_u32 v1, vcc_lo, s12, v1
	v_add_co_ci_u32_e32 v2, vcc_lo, s13, v2, vcc_lo
.LBB29_50:                              ; =>This Inner Loop Header: Depth=1
	ds_load_2addr_b64 v[6:9], v0 offset1:1
	v_add_nc_u32_e32 v5, -1, v5
	v_add_nc_u32_e32 v0, s11, v0
	s_delay_alu instid0(VALU_DEP_2) | instskip(SKIP_4) | instid1(VALU_DEP_1)
	v_cmp_eq_u32_e32 vcc_lo, 0, v5
	s_or_b32 s1, vcc_lo, s1
	s_waitcnt lgkmcnt(0)
	global_store_b128 v[1:2], v[6:9], off
	v_add_co_u32 v1, s0, v1, s2
	v_add_co_ci_u32_e64 v2, s0, s3, v2, s0
	s_and_not1_b32 exec_lo, exec_lo, s1
	s_cbranch_execnz .LBB29_50
.LBB29_51:
	s_nop 0
	s_sendmsg sendmsg(MSG_DEALLOC_VGPRS)
	s_endpgm
	.section	.rodata,"a",@progbits
	.p2align	6, 0x0
	.amdhsa_kernel _ZL26rocblas_trtri_small_kernelILi16E19rocblas_complex_numIdEPKPKS1_PKPS1_Ev13rocblas_fill_17rocblas_diagonal_iT1_lillT2_lilli
		.amdhsa_group_segment_fixed_size 4096
		.amdhsa_private_segment_fixed_size 0
		.amdhsa_kernarg_size 100
		.amdhsa_user_sgpr_count 14
		.amdhsa_user_sgpr_dispatch_ptr 0
		.amdhsa_user_sgpr_queue_ptr 0
		.amdhsa_user_sgpr_kernarg_segment_ptr 1
		.amdhsa_user_sgpr_dispatch_id 0
		.amdhsa_user_sgpr_private_segment_size 0
		.amdhsa_wavefront_size32 1
		.amdhsa_uses_dynamic_stack 0
		.amdhsa_enable_private_segment 0
		.amdhsa_system_sgpr_workgroup_id_x 1
		.amdhsa_system_sgpr_workgroup_id_y 0
		.amdhsa_system_sgpr_workgroup_id_z 1
		.amdhsa_system_sgpr_workgroup_info 0
		.amdhsa_system_vgpr_workitem_id 0
		.amdhsa_next_free_vgpr 29
		.amdhsa_next_free_sgpr 38
		.amdhsa_reserve_vcc 1
		.amdhsa_float_round_mode_32 0
		.amdhsa_float_round_mode_16_64 0
		.amdhsa_float_denorm_mode_32 3
		.amdhsa_float_denorm_mode_16_64 3
		.amdhsa_dx10_clamp 1
		.amdhsa_ieee_mode 1
		.amdhsa_fp16_overflow 0
		.amdhsa_workgroup_processor_mode 1
		.amdhsa_memory_ordered 1
		.amdhsa_forward_progress 0
		.amdhsa_shared_vgpr_count 0
		.amdhsa_exception_fp_ieee_invalid_op 0
		.amdhsa_exception_fp_denorm_src 0
		.amdhsa_exception_fp_ieee_div_zero 0
		.amdhsa_exception_fp_ieee_overflow 0
		.amdhsa_exception_fp_ieee_underflow 0
		.amdhsa_exception_fp_ieee_inexact 0
		.amdhsa_exception_int_div_zero 0
	.end_amdhsa_kernel
	.section	.text._ZL26rocblas_trtri_small_kernelILi16E19rocblas_complex_numIdEPKPKS1_PKPS1_Ev13rocblas_fill_17rocblas_diagonal_iT1_lillT2_lilli,"axG",@progbits,_ZL26rocblas_trtri_small_kernelILi16E19rocblas_complex_numIdEPKPKS1_PKPS1_Ev13rocblas_fill_17rocblas_diagonal_iT1_lillT2_lilli,comdat
.Lfunc_end29:
	.size	_ZL26rocblas_trtri_small_kernelILi16E19rocblas_complex_numIdEPKPKS1_PKPS1_Ev13rocblas_fill_17rocblas_diagonal_iT1_lillT2_lilli, .Lfunc_end29-_ZL26rocblas_trtri_small_kernelILi16E19rocblas_complex_numIdEPKPKS1_PKPS1_Ev13rocblas_fill_17rocblas_diagonal_iT1_lillT2_lilli
                                        ; -- End function
	.section	.AMDGPU.csdata,"",@progbits
; Kernel info:
; codeLenInByte = 2944
; NumSgprs: 40
; NumVgprs: 29
; ScratchSize: 0
; MemoryBound: 0
; FloatMode: 240
; IeeeMode: 1
; LDSByteSize: 4096 bytes/workgroup (compile time only)
; SGPRBlocks: 4
; VGPRBlocks: 3
; NumSGPRsForWavesPerEU: 40
; NumVGPRsForWavesPerEU: 29
; Occupancy: 8
; WaveLimiterHint : 0
; COMPUTE_PGM_RSRC2:SCRATCH_EN: 0
; COMPUTE_PGM_RSRC2:USER_SGPR: 14
; COMPUTE_PGM_RSRC2:TRAP_HANDLER: 0
; COMPUTE_PGM_RSRC2:TGID_X_EN: 1
; COMPUTE_PGM_RSRC2:TGID_Y_EN: 0
; COMPUTE_PGM_RSRC2:TGID_Z_EN: 1
; COMPUTE_PGM_RSRC2:TIDIG_COMP_CNT: 0
	.section	.text._ZL29rocblas_trtri_diagonal_kernelILi16E19rocblas_complex_numIdEPKPKS1_PKPS1_Ev13rocblas_fill_17rocblas_diagonal_iT1_lillT2_lilli,"axG",@progbits,_ZL29rocblas_trtri_diagonal_kernelILi16E19rocblas_complex_numIdEPKPKS1_PKPS1_Ev13rocblas_fill_17rocblas_diagonal_iT1_lillT2_lilli,comdat
	.globl	_ZL29rocblas_trtri_diagonal_kernelILi16E19rocblas_complex_numIdEPKPKS1_PKPS1_Ev13rocblas_fill_17rocblas_diagonal_iT1_lillT2_lilli ; -- Begin function _ZL29rocblas_trtri_diagonal_kernelILi16E19rocblas_complex_numIdEPKPKS1_PKPS1_Ev13rocblas_fill_17rocblas_diagonal_iT1_lillT2_lilli
	.p2align	8
	.type	_ZL29rocblas_trtri_diagonal_kernelILi16E19rocblas_complex_numIdEPKPKS1_PKPS1_Ev13rocblas_fill_17rocblas_diagonal_iT1_lillT2_lilli,@function
_ZL29rocblas_trtri_diagonal_kernelILi16E19rocblas_complex_numIdEPKPKS1_PKPS1_Ev13rocblas_fill_17rocblas_diagonal_iT1_lillT2_lilli: ; @_ZL29rocblas_trtri_diagonal_kernelILi16E19rocblas_complex_numIdEPKPKS1_PKPS1_Ev13rocblas_fill_17rocblas_diagonal_iT1_lillT2_lilli
; %bb.0:
	s_load_b128 s[8:11], s[0:1], 0x0
	s_waitcnt lgkmcnt(0)
	s_ashr_i32 s3, s10, 31
	s_delay_alu instid0(SALU_CYCLE_1) | instskip(NEXT) | instid1(SALU_CYCLE_1)
	s_lshr_b32 s3, s3, 27
	s_add_i32 s3, s10, s3
	s_delay_alu instid0(SALU_CYCLE_1) | instskip(NEXT) | instid1(SALU_CYCLE_1)
	s_ashr_i32 s3, s3, 5
	v_cvt_f32_u32_e32 v1, s3
	s_sub_i32 s5, 0, s3
	s_delay_alu instid0(VALU_DEP_1) | instskip(SKIP_2) | instid1(VALU_DEP_1)
	v_rcp_iflag_f32_e32 v1, v1
	s_waitcnt_depctr 0xfff
	v_mul_f32_e32 v1, 0x4f7ffffe, v1
	v_cvt_u32_f32_e32 v1, v1
	s_delay_alu instid0(VALU_DEP_1) | instskip(NEXT) | instid1(VALU_DEP_1)
	v_readfirstlane_b32 s4, v1
	s_mul_i32 s5, s5, s4
	s_delay_alu instid0(SALU_CYCLE_1) | instskip(NEXT) | instid1(SALU_CYCLE_1)
	s_mul_hi_u32 s5, s4, s5
	s_add_i32 s4, s4, s5
	s_delay_alu instid0(SALU_CYCLE_1) | instskip(NEXT) | instid1(SALU_CYCLE_1)
	s_mul_hi_u32 s4, s14, s4
	s_mul_i32 s5, s4, s3
	s_add_i32 s6, s4, 1
	s_sub_i32 s5, s14, s5
	s_delay_alu instid0(SALU_CYCLE_1)
	s_sub_i32 s7, s5, s3
	s_cmp_ge_u32 s5, s3
	s_cselect_b32 s4, s6, s4
	s_cselect_b32 s5, s7, s5
	s_add_i32 s6, s4, 1
	s_cmp_ge_u32 s5, s3
	s_cselect_b32 s24, s6, s4
	s_delay_alu instid0(SALU_CYCLE_1) | instskip(NEXT) | instid1(SALU_CYCLE_1)
	s_mul_i32 s3, s24, s3
	s_sub_i32 s25, s14, s3
	s_mov_b32 s3, 0
	s_lshl_b32 s11, s25, 4
	s_delay_alu instid0(SALU_CYCLE_1)
	s_cmp_eq_u32 s10, s11
	s_cbranch_scc1 .LBB30_108
; %bb.1:
	s_mov_b32 s2, s15
	s_clause 0x1
	s_load_b128 s[4:7], s[0:1], 0x10
	s_load_b128 s[12:15], s[0:1], 0x30
	s_lshl_b64 s[2:3], s[2:3], 3
	s_load_b64 s[16:17], s[0:1], 0x40
	v_mov_b32_e32 v9, v0
	s_waitcnt lgkmcnt(0)
	s_add_u32 s4, s4, s2
	s_addc_u32 s5, s5, s3
	s_add_u32 s2, s14, s2
	s_addc_u32 s3, s15, s3
	s_load_b64 s[18:19], s[4:5], 0x0
	s_load_b64 s[14:15], s[2:3], 0x0
	s_sub_i32 s23, s10, s11
	s_delay_alu instid0(SALU_CYCLE_1) | instskip(NEXT) | instid1(SALU_CYCLE_1)
	s_min_u32 s22, s23, 16
	s_lshl_b32 s10, s22, 1
	v_cmp_gt_u32_e64 s4, s22, v0
	v_cmp_le_u32_e64 s2, s22, v0
	v_cmp_gt_u32_e64 s3, s10, v0
	v_cmp_le_u32_e32 vcc_lo, s10, v0
	s_delay_alu instid0(VALU_DEP_3)
	s_and_saveexec_b32 s5, s2
	s_cbranch_execz .LBB30_7
; %bb.2:
                                        ; implicit-def: $vgpr9
	s_and_saveexec_b32 s11, vcc_lo
	s_delay_alu instid0(SALU_CYCLE_1)
	s_xor_b32 s11, exec_lo, s11
; %bb.3:
	v_subrev_nc_u32_e32 v9, s10, v0
; %bb.4:
	s_and_not1_saveexec_b32 s10, s11
; %bb.5:
	v_subrev_nc_u32_e32 v9, s22, v0
; %bb.6:
	s_or_b32 exec_lo, exec_lo, s10
.LBB30_7:
	s_delay_alu instid0(SALU_CYCLE_1) | instskip(SKIP_4) | instid1(VALU_DEP_1)
	s_or_b32 exec_lo, exec_lo, s5
	s_load_b32 s10, s[0:1], 0x20
	v_cndmask_b32_e64 v1, 0, 0x3000, s3
	s_mul_i32 s5, s24, s13
	s_mul_hi_u32 s13, s24, s12
	v_cndmask_b32_e64 v11, v1, 0x2000, s4
	s_waitcnt lgkmcnt(0)
	s_ashr_i32 s11, s10, 31
	s_delay_alu instid0(SALU_CYCLE_1) | instskip(NEXT) | instid1(SALU_CYCLE_1)
	s_lshl_b64 s[20:21], s[10:11], 5
	s_add_u32 s4, s20, 32
	s_addc_u32 s20, s21, 0
	s_add_i32 s5, s13, s5
	s_mul_hi_u32 s13, s4, s25
	s_mul_i32 s21, s20, s25
	s_mul_i32 s20, s4, s25
	s_add_i32 s21, s13, s21
	s_mul_i32 s4, s24, s12
	s_and_saveexec_b32 s12, vcc_lo
	s_delay_alu instid0(SALU_CYCLE_1)
	s_xor_b32 s26, exec_lo, s12
	s_cbranch_execz .LBB30_17
; %bb.8:
	s_mul_i32 s12, s22, 3
	s_mov_b32 s27, exec_lo
	v_cmpx_gt_u32_e64 s12, v0
	s_cbranch_execz .LBB30_16
; %bb.9:
	s_cmpk_eq_i32 s8, 0x7a
	s_mov_b32 s12, -1
	s_cbranch_scc1 .LBB30_13
; %bb.10:
	s_add_i32 s28, s22, -1
	s_lshl_b32 s36, s22, 4
	s_mul_i32 s13, s22, s28
	s_lshl_b64 s[30:31], s[4:5], 4
	s_lshl_b64 s[34:35], s[20:21], 4
	s_add_i32 s12, s22, 1
	s_lshl_b32 s33, s13, 4
	s_mov_b32 s29, 0
	s_sub_i32 s13, 0, s36
	v_lshlrev_b32_e32 v1, 4, v9
	s_add_u32 s30, s30, s34
	s_addc_u32 s31, s31, s35
	s_lshl_b64 s[28:29], s[28:29], 4
	v_ashrrev_i32_e32 v10, 31, v9
	s_add_u32 s28, s36, s28
	v_add3_u32 v3, s33, v1, v11
	s_mul_i32 s33, s28, s11
	s_mul_hi_u32 s34, s28, s10
	s_addc_u32 s29, 0, s29
	s_add_i32 s33, s34, s33
	s_mul_i32 s29, s29, s10
	s_mul_i32 s28, s28, s10
	s_add_i32 s33, s33, s29
	s_add_u32 s30, s30, s28
	s_addc_u32 s31, s31, s33
	s_lshl_b64 s[28:29], s[6:7], 4
	v_lshlrev_b64 v[1:2], 4, v[9:10]
	s_add_u32 s28, s30, s28
	s_addc_u32 s29, s31, s29
	s_add_u32 s28, s18, s28
	s_addc_u32 s29, s19, s29
	s_delay_alu instid0(VALU_DEP_1) | instskip(SKIP_2) | instid1(SALU_CYCLE_1)
	v_add_co_u32 v1, vcc_lo, s28, v1
	v_add_co_ci_u32_e32 v2, vcc_lo, s29, v2, vcc_lo
	s_lshl_b64 s[28:29], s[10:11], 4
	s_sub_u32 s28, 0, s28
	s_subb_u32 s29, 0, s29
.LBB30_11:                              ; =>This Inner Loop Header: Depth=1
	global_load_b128 v[4:7], v[1:2], off
	v_add_co_u32 v1, vcc_lo, v1, s28
	v_add_co_ci_u32_e32 v2, vcc_lo, s29, v2, vcc_lo
	s_add_i32 s12, s12, -1
	s_delay_alu instid0(SALU_CYCLE_1)
	s_cmp_gt_u32 s12, 1
	s_waitcnt vmcnt(0)
	ds_store_2addr_b64 v3, v[4:5], v[6:7] offset1:1
	v_add_nc_u32_e32 v3, s13, v3
	s_cbranch_scc1 .LBB30_11
; %bb.12:
	s_mov_b32 s12, 0
.LBB30_13:
	s_delay_alu instid0(SALU_CYCLE_1)
	s_and_b32 vcc_lo, exec_lo, s12
	s_cbranch_vccz .LBB30_16
; %bb.14:
	v_add_nc_u32_e32 v1, s22, v9
	s_lshl_b64 s[12:13], s[6:7], 4
	v_lshl_add_u32 v3, v9, 4, v11
	s_add_u32 s28, s18, s12
	s_addc_u32 s29, s19, s13
	v_ashrrev_i32_e32 v2, 31, v1
	s_lshl_b64 s[12:13], s[20:21], 4
	s_delay_alu instid0(SALU_CYCLE_1) | instskip(SKIP_1) | instid1(VALU_DEP_1)
	s_add_u32 s28, s28, s12
	s_addc_u32 s29, s29, s13
	v_lshlrev_b64 v[1:2], 4, v[1:2]
	s_lshl_b64 s[12:13], s[4:5], 4
	s_delay_alu instid0(SALU_CYCLE_1) | instskip(SKIP_2) | instid1(VALU_DEP_1)
	s_add_u32 s12, s28, s12
	s_addc_u32 s13, s29, s13
	s_lshl_b32 s28, s22, 4
	v_add_co_u32 v1, vcc_lo, s12, v1
	v_add_co_ci_u32_e32 v2, vcc_lo, s13, v2, vcc_lo
	s_lshl_b64 s[12:13], s[10:11], 4
	s_mov_b32 s29, s22
.LBB30_15:                              ; =>This Inner Loop Header: Depth=1
	global_load_b128 v[4:7], v[1:2], off
	v_add_co_u32 v1, vcc_lo, v1, s12
	v_add_co_ci_u32_e32 v2, vcc_lo, s13, v2, vcc_lo
	s_add_i32 s29, s29, -1
	s_delay_alu instid0(SALU_CYCLE_1)
	s_cmp_eq_u32 s29, 0
	s_waitcnt vmcnt(0)
	ds_store_2addr_b64 v3, v[4:5], v[6:7] offset1:1
	v_add_nc_u32_e32 v3, s28, v3
	s_cbranch_scc0 .LBB30_15
.LBB30_16:
	s_or_b32 exec_lo, exec_lo, s27
.LBB30_17:
	s_and_not1_saveexec_b32 s12, s26
	s_cbranch_execz .LBB30_31
; %bb.18:
	v_mov_b32_e32 v1, 0
	v_mov_b32_e32 v2, 0
	s_and_saveexec_b32 s13, s2
; %bb.19:
	s_add_u32 s26, s10, 1
	s_addc_u32 s27, s11, 0
	s_mul_hi_u32 s28, s26, s22
	s_mul_i32 s27, s27, s22
	s_mul_i32 s26, s26, s22
	s_add_i32 s27, s28, s27
	s_delay_alu instid0(SALU_CYCLE_1)
	v_dual_mov_b32 v1, s26 :: v_dual_mov_b32 v2, s27
; %bb.20:
	s_or_b32 exec_lo, exec_lo, s13
	s_delay_alu instid0(VALU_DEP_1)
	v_lshlrev_b64 v[5:6], 4, v[1:2]
	s_cmpk_lg_i32 s8, 0x7a
	s_mov_b32 s13, -1
	s_cbranch_scc0 .LBB30_26
; %bb.21:
	s_add_i32 s13, s22, -1
	s_lshl_b64 s[28:29], s[4:5], 4
	s_lshl_b64 s[30:31], s[20:21], 4
	s_lshl_b32 s26, s22, 4
	s_add_u32 s27, s28, s30
	s_mul_i32 s28, s11, s13
	s_mul_hi_u32 s30, s10, s13
	s_addc_u32 s31, s29, s31
	s_add_i32 s29, s30, s28
	s_mul_i32 s28, s10, s13
	v_ashrrev_i32_e32 v10, 31, v9
	s_lshl_b64 s[28:29], s[28:29], 4
	s_delay_alu instid0(SALU_CYCLE_1)
	s_add_u32 s27, s27, s28
	s_addc_u32 s30, s31, s29
	s_lshl_b64 s[28:29], s[6:7], 4
	v_lshlrev_b64 v[1:2], 4, v[9:10]
	s_add_u32 s27, s28, s27
	s_addc_u32 s28, s29, s30
	v_add_co_u32 v3, vcc_lo, s27, v5
	v_add_co_ci_u32_e32 v4, vcc_lo, s28, v6, vcc_lo
	s_lshl_b64 s[28:29], s[10:11], 4
	s_delay_alu instid0(VALU_DEP_2) | instskip(NEXT) | instid1(VALU_DEP_2)
	v_add_co_u32 v1, vcc_lo, v3, v1
	v_add_co_ci_u32_e32 v2, vcc_lo, v4, v2, vcc_lo
	v_sub_nc_u32_e32 v3, s13, v9
	s_delay_alu instid0(VALU_DEP_3) | instskip(NEXT) | instid1(VALU_DEP_3)
	v_add_co_u32 v1, vcc_lo, v1, s18
	v_add_co_ci_u32_e32 v2, vcc_lo, s19, v2, vcc_lo
	s_delay_alu instid0(VALU_DEP_3) | instskip(NEXT) | instid1(VALU_DEP_3)
	v_lshl_add_u32 v10, v3, 4, v11
	v_add_co_u32 v7, vcc_lo, v1, 8
	s_delay_alu instid0(VALU_DEP_3)
	v_add_co_ci_u32_e32 v8, vcc_lo, 0, v2, vcc_lo
	s_sub_u32 s27, 0, s28
	s_subb_u32 s28, 0, s29
	s_branch .LBB30_23
	.p2align	6
.LBB30_22:                              ;   in Loop: Header=BB30_23 Depth=1
	s_or_b32 exec_lo, exec_lo, s29
	v_add_co_u32 v7, vcc_lo, v7, s27
	s_waitcnt vmcnt(0)
	ds_store_b128 v10, v[1:4]
	v_add_nc_u32_e32 v10, s26, v10
	v_add_co_ci_u32_e32 v8, vcc_lo, s28, v8, vcc_lo
	s_add_i32 s13, s13, -1
	s_delay_alu instid0(SALU_CYCLE_1)
	s_cmp_eq_u32 s13, -1
	s_cbranch_scc1 .LBB30_25
.LBB30_23:                              ; =>This Inner Loop Header: Depth=1
	v_mov_b32_e32 v1, 0
	v_mov_b32_e32 v2, 0
	s_mov_b32 s29, exec_lo
	s_delay_alu instid0(VALU_DEP_1)
	v_dual_mov_b32 v4, v2 :: v_dual_mov_b32 v3, v1
	v_cmpx_ge_i32_e64 s13, v9
	s_cbranch_execz .LBB30_22
; %bb.24:                               ;   in Loop: Header=BB30_23 Depth=1
	global_load_b128 v[1:4], v[7:8], off offset:-8
	s_branch .LBB30_22
.LBB30_25:
	s_mov_b32 s13, 0
.LBB30_26:
	s_delay_alu instid0(SALU_CYCLE_1)
	s_and_b32 vcc_lo, exec_lo, s13
	s_cbranch_vccz .LBB30_31
; %bb.27:
	s_lshl_b64 s[4:5], s[4:5], 4
	s_lshl_b64 s[20:21], s[20:21], 4
	v_ashrrev_i32_e32 v10, 31, v9
	s_lshl_b32 s13, s22, 4
	s_add_u32 s20, s4, s20
	s_addc_u32 s21, s5, s21
	s_lshl_b64 s[4:5], s[6:7], 4
	v_lshlrev_b64 v[1:2], 4, v[9:10]
	s_add_u32 s4, s4, s20
	s_addc_u32 s5, s5, s21
	v_add_co_u32 v3, vcc_lo, s4, v5
	v_add_co_ci_u32_e32 v4, vcc_lo, s5, v6, vcc_lo
	v_lshl_add_u32 v7, v9, 4, v11
	s_delay_alu instid0(VALU_DEP_3) | instskip(NEXT) | instid1(VALU_DEP_3)
	v_add_co_u32 v1, vcc_lo, v3, v1
	v_add_co_ci_u32_e32 v2, vcc_lo, v4, v2, vcc_lo
	s_lshl_b64 s[4:5], s[10:11], 4
	s_delay_alu instid0(VALU_DEP_2) | instskip(NEXT) | instid1(VALU_DEP_2)
	v_add_co_u32 v1, vcc_lo, v1, s18
	v_add_co_ci_u32_e32 v2, vcc_lo, s19, v2, vcc_lo
	s_mov_b32 s6, 0
	s_delay_alu instid0(VALU_DEP_2) | instskip(NEXT) | instid1(VALU_DEP_2)
	v_add_co_u32 v5, vcc_lo, v1, 8
	v_add_co_ci_u32_e32 v6, vcc_lo, 0, v2, vcc_lo
	s_branch .LBB30_29
	.p2align	6
.LBB30_28:                              ;   in Loop: Header=BB30_29 Depth=1
	s_or_b32 exec_lo, exec_lo, s7
	v_add_co_u32 v5, vcc_lo, v5, s4
	s_waitcnt vmcnt(0)
	ds_store_b128 v7, v[1:4]
	v_add_nc_u32_e32 v7, s13, v7
	v_add_co_ci_u32_e32 v6, vcc_lo, s5, v6, vcc_lo
	s_add_i32 s6, s6, 1
	s_delay_alu instid0(SALU_CYCLE_1)
	s_cmp_eq_u32 s22, s6
	s_cbranch_scc1 .LBB30_31
.LBB30_29:                              ; =>This Inner Loop Header: Depth=1
	v_mov_b32_e32 v1, 0
	v_mov_b32_e32 v2, 0
	s_mov_b32 s7, exec_lo
	s_delay_alu instid0(VALU_DEP_1)
	v_dual_mov_b32 v4, v2 :: v_dual_mov_b32 v3, v1
	v_cmpx_le_i32_e64 s6, v9
	s_cbranch_execz .LBB30_28
; %bb.30:                               ;   in Loop: Header=BB30_29 Depth=1
	global_load_b128 v[1:4], v[5:6], off offset:-8
	s_branch .LBB30_28
.LBB30_31:
	s_or_b32 exec_lo, exec_lo, s12
	s_waitcnt lgkmcnt(0)
	s_barrier
	buffer_gl0_inv
	s_and_saveexec_b32 s5, s3
	s_cbranch_execz .LBB30_42
; %bb.32:
	s_add_i32 s4, s22, 1
	s_cmpk_eq_i32 s9, 0x84
	v_mul_i32_i24_e32 v1, s4, v9
	s_delay_alu instid0(VALU_DEP_1)
	v_lshl_add_u32 v10, v1, 4, v11
	s_cbranch_scc1 .LBB30_40
; %bb.33:
	ds_load_b128 v[1:4], v10
	v_mov_b32_e32 v7, 0
	v_dual_mov_b32 v8, 0 :: v_dual_mov_b32 v5, 0
	v_mov_b32_e32 v6, 0x3ff00000
	s_waitcnt lgkmcnt(0)
	v_cmp_neq_f64_e32 vcc_lo, 0, v[1:2]
	v_cmp_neq_f64_e64 s4, 0, v[3:4]
	s_delay_alu instid0(VALU_DEP_1) | instskip(NEXT) | instid1(SALU_CYCLE_1)
	s_or_b32 s4, vcc_lo, s4
	s_and_saveexec_b32 s6, s4
	s_cbranch_execz .LBB30_39
; %bb.34:
	v_cmp_gt_f64_e32 vcc_lo, 0, v[1:2]
	v_cmp_gt_f64_e64 s4, 0, v[3:4]
	v_xor_b32_e32 v5, 0x80000000, v2
	v_xor_b32_e32 v7, 0x80000000, v4
	s_delay_alu instid0(VALU_DEP_2) | instskip(NEXT) | instid1(VALU_DEP_2)
	v_cndmask_b32_e32 v6, v2, v5, vcc_lo
	v_cndmask_b32_e64 v8, v4, v7, s4
	v_cndmask_b32_e32 v5, v1, v1, vcc_lo
	v_cndmask_b32_e64 v7, v3, v3, s4
	s_delay_alu instid0(VALU_DEP_1) | instskip(SKIP_1) | instid1(SALU_CYCLE_1)
	v_cmp_ngt_f64_e32 vcc_lo, v[5:6], v[7:8]
                                        ; implicit-def: $vgpr7_vgpr8
	s_and_saveexec_b32 s4, vcc_lo
	s_xor_b32 s4, exec_lo, s4
	s_cbranch_execz .LBB30_36
; %bb.35:
	v_div_scale_f64 v[5:6], null, v[3:4], v[3:4], v[1:2]
	v_div_scale_f64 v[14:15], vcc_lo, v[1:2], v[3:4], v[1:2]
	s_delay_alu instid0(VALU_DEP_2) | instskip(SKIP_2) | instid1(VALU_DEP_1)
	v_rcp_f64_e32 v[7:8], v[5:6]
	s_waitcnt_depctr 0xfff
	v_fma_f64 v[12:13], -v[5:6], v[7:8], 1.0
	v_fma_f64 v[7:8], v[7:8], v[12:13], v[7:8]
	s_delay_alu instid0(VALU_DEP_1) | instskip(NEXT) | instid1(VALU_DEP_1)
	v_fma_f64 v[12:13], -v[5:6], v[7:8], 1.0
	v_fma_f64 v[7:8], v[7:8], v[12:13], v[7:8]
	s_delay_alu instid0(VALU_DEP_1) | instskip(NEXT) | instid1(VALU_DEP_1)
	v_mul_f64 v[12:13], v[14:15], v[7:8]
	v_fma_f64 v[5:6], -v[5:6], v[12:13], v[14:15]
	s_delay_alu instid0(VALU_DEP_1) | instskip(NEXT) | instid1(VALU_DEP_1)
	v_div_fmas_f64 v[5:6], v[5:6], v[7:8], v[12:13]
	v_div_fixup_f64 v[5:6], v[5:6], v[3:4], v[1:2]
	s_delay_alu instid0(VALU_DEP_1) | instskip(NEXT) | instid1(VALU_DEP_1)
	v_fma_f64 v[1:2], v[1:2], v[5:6], v[3:4]
	v_div_scale_f64 v[3:4], null, v[1:2], v[1:2], 1.0
	s_delay_alu instid0(VALU_DEP_1) | instskip(SKIP_2) | instid1(VALU_DEP_1)
	v_rcp_f64_e32 v[7:8], v[3:4]
	s_waitcnt_depctr 0xfff
	v_fma_f64 v[12:13], -v[3:4], v[7:8], 1.0
	v_fma_f64 v[7:8], v[7:8], v[12:13], v[7:8]
	s_delay_alu instid0(VALU_DEP_1) | instskip(NEXT) | instid1(VALU_DEP_1)
	v_fma_f64 v[12:13], -v[3:4], v[7:8], 1.0
	v_fma_f64 v[7:8], v[7:8], v[12:13], v[7:8]
	v_div_scale_f64 v[12:13], vcc_lo, 1.0, v[1:2], 1.0
	s_delay_alu instid0(VALU_DEP_1) | instskip(NEXT) | instid1(VALU_DEP_1)
	v_mul_f64 v[14:15], v[12:13], v[7:8]
	v_fma_f64 v[3:4], -v[3:4], v[14:15], v[12:13]
	s_delay_alu instid0(VALU_DEP_1) | instskip(NEXT) | instid1(VALU_DEP_1)
	v_div_fmas_f64 v[3:4], v[3:4], v[7:8], v[14:15]
	v_div_fixup_f64 v[7:8], v[3:4], v[1:2], 1.0
                                        ; implicit-def: $vgpr1_vgpr2
	s_delay_alu instid0(VALU_DEP_1)
	v_mul_f64 v[5:6], v[5:6], v[7:8]
	v_xor_b32_e32 v8, 0x80000000, v8
.LBB30_36:
	s_and_not1_saveexec_b32 s4, s4
	s_cbranch_execz .LBB30_38
; %bb.37:
	v_div_scale_f64 v[5:6], null, v[1:2], v[1:2], v[3:4]
	v_div_scale_f64 v[14:15], vcc_lo, v[3:4], v[1:2], v[3:4]
	s_delay_alu instid0(VALU_DEP_2) | instskip(SKIP_2) | instid1(VALU_DEP_1)
	v_rcp_f64_e32 v[7:8], v[5:6]
	s_waitcnt_depctr 0xfff
	v_fma_f64 v[12:13], -v[5:6], v[7:8], 1.0
	v_fma_f64 v[7:8], v[7:8], v[12:13], v[7:8]
	s_delay_alu instid0(VALU_DEP_1) | instskip(NEXT) | instid1(VALU_DEP_1)
	v_fma_f64 v[12:13], -v[5:6], v[7:8], 1.0
	v_fma_f64 v[7:8], v[7:8], v[12:13], v[7:8]
	s_delay_alu instid0(VALU_DEP_1) | instskip(NEXT) | instid1(VALU_DEP_1)
	v_mul_f64 v[12:13], v[14:15], v[7:8]
	v_fma_f64 v[5:6], -v[5:6], v[12:13], v[14:15]
	s_delay_alu instid0(VALU_DEP_1) | instskip(NEXT) | instid1(VALU_DEP_1)
	v_div_fmas_f64 v[5:6], v[5:6], v[7:8], v[12:13]
	v_div_fixup_f64 v[7:8], v[5:6], v[1:2], v[3:4]
	s_delay_alu instid0(VALU_DEP_1) | instskip(NEXT) | instid1(VALU_DEP_1)
	v_fma_f64 v[1:2], v[3:4], v[7:8], v[1:2]
	v_div_scale_f64 v[3:4], null, v[1:2], v[1:2], 1.0
	s_delay_alu instid0(VALU_DEP_1) | instskip(SKIP_2) | instid1(VALU_DEP_1)
	v_rcp_f64_e32 v[5:6], v[3:4]
	s_waitcnt_depctr 0xfff
	v_fma_f64 v[12:13], -v[3:4], v[5:6], 1.0
	v_fma_f64 v[5:6], v[5:6], v[12:13], v[5:6]
	s_delay_alu instid0(VALU_DEP_1) | instskip(NEXT) | instid1(VALU_DEP_1)
	v_fma_f64 v[12:13], -v[3:4], v[5:6], 1.0
	v_fma_f64 v[5:6], v[5:6], v[12:13], v[5:6]
	v_div_scale_f64 v[12:13], vcc_lo, 1.0, v[1:2], 1.0
	s_delay_alu instid0(VALU_DEP_1) | instskip(NEXT) | instid1(VALU_DEP_1)
	v_mul_f64 v[14:15], v[12:13], v[5:6]
	v_fma_f64 v[3:4], -v[3:4], v[14:15], v[12:13]
	s_delay_alu instid0(VALU_DEP_1) | instskip(NEXT) | instid1(VALU_DEP_1)
	v_div_fmas_f64 v[3:4], v[3:4], v[5:6], v[14:15]
	v_div_fixup_f64 v[5:6], v[3:4], v[1:2], 1.0
	s_delay_alu instid0(VALU_DEP_1)
	v_mul_f64 v[7:8], v[7:8], -v[5:6]
.LBB30_38:
	s_or_b32 exec_lo, exec_lo, s4
.LBB30_39:
	s_delay_alu instid0(SALU_CYCLE_1)
	s_or_b32 exec_lo, exec_lo, s6
	s_branch .LBB30_41
.LBB30_40:
	v_mov_b32_e32 v5, 0
	v_dual_mov_b32 v6, 0x3ff00000 :: v_dual_mov_b32 v7, 0
	v_mov_b32_e32 v8, 0
.LBB30_41:
	ds_store_b128 v10, v[5:8]
.LBB30_42:
	s_or_b32 exec_lo, exec_lo, s5
	s_waitcnt lgkmcnt(0)
	s_barrier
	buffer_gl0_inv
	s_and_saveexec_b32 s4, s3
	s_cbranch_execz .LBB30_54
; %bb.43:
	s_add_i32 s5, s22, 1
	v_lshlrev_b32_e32 v1, 4, v9
	v_mul_i32_i24_e32 v2, s5, v9
	s_lshl_b32 s5, s22, 4
	v_add_nc_u32_e32 v5, 16, v11
	s_add_i32 s6, s5, 16
	v_add_nc_u32_e32 v6, v11, v1
	v_lshl_add_u32 v7, v2, 4, v11
	v_add3_u32 v8, v1, s5, v11
	s_mov_b32 s7, 0
	s_branch .LBB30_45
.LBB30_44:                              ;   in Loop: Header=BB30_45 Depth=1
	s_set_inst_prefetch_distance 0x2
	v_add_nc_u32_e32 v5, s6, v5
	v_add_nc_u32_e32 v8, s5, v8
	s_cmp_eq_u32 s7, s22
	s_cbranch_scc1 .LBB30_54
.LBB30_45:                              ; =>This Loop Header: Depth=1
                                        ;     Child Loop BB30_50 Depth 2
	v_mov_b32_e32 v1, 0
	v_mov_b32_e32 v2, 0
	s_mul_i32 s9, s7, s22
	s_mov_b32 s10, exec_lo
	s_delay_alu instid0(VALU_DEP_1)
	v_dual_mov_b32 v4, v2 :: v_dual_mov_b32 v3, v1
	v_cmpx_lt_i32_e64 s7, v9
	s_cbranch_execz .LBB30_47
; %bb.46:                               ;   in Loop: Header=BB30_45 Depth=1
	s_lshl_b32 s11, s9, 4
	s_lshl_b32 s12, s7, 4
	v_add_nc_u32_e32 v10, s11, v6
	v_add3_u32 v1, s11, s12, v11
	ds_load_b128 v[1:4], v1
	ds_load_b128 v[12:15], v10
	s_waitcnt lgkmcnt(0)
	v_mul_f64 v[16:17], v[3:4], v[14:15]
	v_mul_f64 v[14:15], v[1:2], v[14:15]
	s_delay_alu instid0(VALU_DEP_2) | instskip(NEXT) | instid1(VALU_DEP_2)
	v_fma_f64 v[1:2], v[1:2], v[12:13], -v[16:17]
	v_fma_f64 v[3:4], v[3:4], v[12:13], v[14:15]
	s_delay_alu instid0(VALU_DEP_2) | instskip(NEXT) | instid1(VALU_DEP_2)
	v_add_f64 v[1:2], v[1:2], 0
	v_add_f64 v[3:4], v[3:4], 0
.LBB30_47:                              ;   in Loop: Header=BB30_45 Depth=1
	s_or_b32 exec_lo, exec_lo, s10
	s_add_i32 s7, s7, 1
	s_delay_alu instid0(SALU_CYCLE_1)
	s_cmp_ge_u32 s7, s22
	s_cbranch_scc1 .LBB30_44
; %bb.48:                               ;   in Loop: Header=BB30_45 Depth=1
	v_lshl_add_u32 v10, s9, 4, v6
	v_dual_mov_b32 v12, v8 :: v_dual_mov_b32 v13, v5
	s_mov_b32 s9, s7
	s_set_inst_prefetch_distance 0x1
	s_branch .LBB30_50
	.p2align	6
.LBB30_49:                              ;   in Loop: Header=BB30_50 Depth=2
	s_or_b32 exec_lo, exec_lo, s10
	v_add_nc_u32_e32 v13, 16, v13
	v_add_nc_u32_e32 v12, s5, v12
	s_add_i32 s9, s9, 1
	s_delay_alu instid0(SALU_CYCLE_1)
	s_cmp_ge_u32 s9, s22
	s_cbranch_scc1 .LBB30_44
.LBB30_50:                              ;   Parent Loop BB30_45 Depth=1
                                        ; =>  This Inner Loop Header: Depth=2
	s_mov_b32 s10, exec_lo
	v_cmpx_eq_u32_e64 s9, v9
	s_cbranch_execz .LBB30_52
; %bb.51:                               ;   in Loop: Header=BB30_50 Depth=2
	ds_load_b128 v[14:17], v7
	v_add_f64 v[18:19], -v[1:2], 0
	s_waitcnt lgkmcnt(0)
	v_mul_f64 v[20:21], v[3:4], v[16:17]
	v_mul_f64 v[22:23], v[3:4], v[14:15]
	s_delay_alu instid0(VALU_DEP_2) | instskip(NEXT) | instid1(VALU_DEP_2)
	v_fma_f64 v[14:15], v[18:19], v[14:15], v[20:21]
	v_fma_f64 v[16:17], v[18:19], v[16:17], -v[22:23]
	ds_store_b128 v10, v[14:17]
.LBB30_52:                              ;   in Loop: Header=BB30_50 Depth=2
	s_or_b32 exec_lo, exec_lo, s10
	s_delay_alu instid0(SALU_CYCLE_1)
	s_mov_b32 s10, exec_lo
	v_cmpx_lt_i32_e64 s9, v9
	s_cbranch_execz .LBB30_49
; %bb.53:                               ;   in Loop: Header=BB30_50 Depth=2
	ds_load_b128 v[14:17], v13
	ds_load_b128 v[18:21], v12
	s_waitcnt lgkmcnt(0)
	v_mul_f64 v[22:23], v[16:17], v[20:21]
	v_mul_f64 v[20:21], v[14:15], v[20:21]
	s_delay_alu instid0(VALU_DEP_2) | instskip(NEXT) | instid1(VALU_DEP_2)
	v_fma_f64 v[14:15], v[14:15], v[18:19], -v[22:23]
	v_fma_f64 v[16:17], v[16:17], v[18:19], v[20:21]
	s_delay_alu instid0(VALU_DEP_2) | instskip(NEXT) | instid1(VALU_DEP_2)
	v_add_f64 v[1:2], v[1:2], v[14:15]
	v_add_f64 v[3:4], v[3:4], v[16:17]
	s_branch .LBB30_49
.LBB30_54:
	s_or_b32 exec_lo, exec_lo, s4
	s_and_b32 s4, s22, 0xffff
	v_cvt_f32_ubyte0_e32 v3, v0
	v_cvt_f32_u32_e32 v1, s4
	s_mul_i32 s4, s22, s22
	s_cmpk_lg_i32 s8, 0x7a
	v_cmp_gt_u32_e64 s4, s4, v0
	s_cselect_b32 s5, -1, 0
	v_rcp_iflag_f32_e32 v2, v1
	s_mov_b32 s9, 0
	s_waitcnt lgkmcnt(0)
	s_barrier
	buffer_gl0_inv
	v_mul_f32_e32 v2, v3, v2
	s_delay_alu instid0(VALU_DEP_1) | instskip(NEXT) | instid1(VALU_DEP_1)
	v_trunc_f32_e32 v2, v2
	v_fma_f32 v3, -v2, v1, v3
	v_cvt_u32_f32_e32 v2, v2
	s_delay_alu instid0(VALU_DEP_2) | instskip(NEXT) | instid1(VALU_DEP_2)
	v_cmp_ge_f32_e64 vcc_lo, |v3|, v1
	v_add_co_ci_u32_e32 v1, vcc_lo, 0, v2, vcc_lo
	s_and_b32 vcc_lo, exec_lo, s5
	s_delay_alu instid0(VALU_DEP_1) | instskip(SKIP_1) | instid1(VALU_DEP_2)
	v_mul_lo_u16 v2, v1, s22
	v_and_b32_e32 v8, 0xffff, v1
	v_sub_nc_u16 v2, v0, v2
	s_delay_alu instid0(VALU_DEP_1)
	v_and_b32_e32 v7, 0xffff, v2
	s_cbranch_vccz .LBB30_65
; %bb.55:
	s_mov_b32 s6, 0
                                        ; implicit-def: $vgpr2_vgpr3
                                        ; implicit-def: $vgpr4
	s_and_saveexec_b32 s7, s4
	s_cbranch_execz .LBB30_66
; %bb.56:
	v_dual_mov_b32 v0, 0 :: v_dual_mov_b32 v5, 0
	v_dual_mov_b32 v1, 0 :: v_dual_add_nc_u32 v6, 1, v8
	v_lshlrev_b32_e32 v4, 8, v8
	s_mov_b32 s8, exec_lo
	s_delay_alu instid0(VALU_DEP_2)
	v_dual_mov_b32 v3, v1 :: v_dual_mov_b32 v2, v0
	v_cmpx_lt_u16_e32 2, v8
	s_cbranch_execz .LBB30_60
; %bb.57:
	v_dual_mov_b32 v2, 0 :: v_dual_and_b32 v5, 0x7fc, v6
	v_dual_mov_b32 v3, 0 :: v_dual_lshlrev_b32 v10, 4, v7
	v_sub_nc_u32_e32 v12, 0x3fc0, v4
	s_delay_alu instid0(VALU_DEP_3) | instskip(SKIP_1) | instid1(VALU_DEP_3)
	v_mov_b32_e32 v0, v2
	s_mov_b32 s10, 0
	v_mov_b32_e32 v1, v3
.LBB30_58:                              ; =>This Inner Loop Header: Depth=1
	ds_load_b128 v[13:16], v12 offset:48
	ds_load_b128 v[17:20], v10
	ds_load_b128 v[21:24], v12 offset:32
	ds_load_b128 v[25:28], v10 offset:256
	s_add_i32 s10, s10, 4
	s_delay_alu instid0(SALU_CYCLE_1)
	v_cmp_eq_u32_e32 vcc_lo, s10, v5
	s_or_b32 s9, vcc_lo, s9
	s_waitcnt lgkmcnt(2)
	v_mul_f64 v[29:30], v[15:16], v[19:20]
	v_mul_f64 v[19:20], v[13:14], v[19:20]
	s_waitcnt lgkmcnt(0)
	v_mul_f64 v[35:36], v[23:24], v[27:28]
	v_mul_f64 v[37:38], v[21:22], v[27:28]
	s_delay_alu instid0(VALU_DEP_4) | instskip(NEXT) | instid1(VALU_DEP_4)
	v_fma_f64 v[39:40], v[13:14], v[17:18], -v[29:30]
	v_fma_f64 v[41:42], v[15:16], v[17:18], v[19:20]
	ds_load_b128 v[13:16], v12 offset:16
	ds_load_b128 v[17:20], v10 offset:512
	ds_load_b128 v[27:30], v12
	ds_load_b128 v[31:34], v10 offset:768
	v_fma_f64 v[21:22], v[21:22], v[25:26], -v[35:36]
	v_fma_f64 v[23:24], v[23:24], v[25:26], v[37:38]
	v_add_nc_u32_e32 v10, 0x400, v10
	v_subrev_nc_u32_e32 v12, 64, v12
	s_waitcnt lgkmcnt(2)
	v_mul_f64 v[43:44], v[15:16], v[19:20]
	v_mul_f64 v[19:20], v[13:14], v[19:20]
	s_waitcnt lgkmcnt(0)
	v_mul_f64 v[25:26], v[29:30], v[33:34]
	v_mul_f64 v[33:34], v[27:28], v[33:34]
	v_add_f64 v[0:1], v[0:1], v[39:40]
	v_add_f64 v[2:3], v[2:3], v[41:42]
	v_fma_f64 v[13:14], v[13:14], v[17:18], -v[43:44]
	v_fma_f64 v[15:16], v[15:16], v[17:18], v[19:20]
	v_fma_f64 v[17:18], v[27:28], v[31:32], -v[25:26]
	v_fma_f64 v[19:20], v[29:30], v[31:32], v[33:34]
	v_add_f64 v[0:1], v[0:1], v[21:22]
	v_add_f64 v[2:3], v[2:3], v[23:24]
	s_delay_alu instid0(VALU_DEP_2) | instskip(NEXT) | instid1(VALU_DEP_2)
	v_add_f64 v[0:1], v[0:1], v[13:14]
	v_add_f64 v[2:3], v[2:3], v[15:16]
	s_delay_alu instid0(VALU_DEP_2) | instskip(NEXT) | instid1(VALU_DEP_2)
	v_add_f64 v[0:1], v[0:1], v[17:18]
	v_add_f64 v[2:3], v[2:3], v[19:20]
	s_and_not1_b32 exec_lo, exec_lo, s9
	s_cbranch_execnz .LBB30_58
; %bb.59:
	s_or_b32 exec_lo, exec_lo, s9
.LBB30_60:
	s_delay_alu instid0(SALU_CYCLE_1) | instskip(SKIP_3) | instid1(VALU_DEP_1)
	s_or_b32 exec_lo, exec_lo, s8
	v_and_b32_e32 v6, 3, v6
	s_mov_b32 s9, 0
	s_mov_b32 s8, exec_lo
	v_cmpx_ne_u32_e32 0, v6
	s_cbranch_execz .LBB30_64
; %bb.61:
	v_lshl_add_u32 v4, v5, 4, v4
	v_lshlrev_b32_e32 v10, 4, v7
	s_delay_alu instid0(VALU_DEP_2) | instskip(NEXT) | instid1(VALU_DEP_2)
	v_sub_nc_u32_e32 v4, 0x3ff0, v4
	v_lshl_add_u32 v5, v5, 8, v10
	.p2align	6
.LBB30_62:                              ; =>This Inner Loop Header: Depth=1
	ds_load_b128 v[12:15], v4
	ds_load_b128 v[16:19], v5
	v_add_nc_u32_e32 v6, -1, v6
	v_add_nc_u32_e32 v4, -16, v4
	v_add_nc_u32_e32 v5, 0x100, v5
	s_delay_alu instid0(VALU_DEP_3) | instskip(SKIP_4) | instid1(VALU_DEP_2)
	v_cmp_eq_u32_e32 vcc_lo, 0, v6
	s_or_b32 s9, vcc_lo, s9
	s_waitcnt lgkmcnt(0)
	v_mul_f64 v[20:21], v[14:15], v[18:19]
	v_mul_f64 v[18:19], v[12:13], v[18:19]
	v_fma_f64 v[12:13], v[12:13], v[16:17], -v[20:21]
	s_delay_alu instid0(VALU_DEP_2) | instskip(NEXT) | instid1(VALU_DEP_2)
	v_fma_f64 v[14:15], v[14:15], v[16:17], v[18:19]
	v_add_f64 v[0:1], v[0:1], v[12:13]
	s_delay_alu instid0(VALU_DEP_2)
	v_add_f64 v[2:3], v[2:3], v[14:15]
	s_and_not1_b32 exec_lo, exec_lo, s9
	s_cbranch_execnz .LBB30_62
; %bb.63:
	s_or_b32 exec_lo, exec_lo, s9
.LBB30_64:
	s_delay_alu instid0(SALU_CYCLE_1) | instskip(SKIP_3) | instid1(SALU_CYCLE_1)
	s_or_b32 exec_lo, exec_lo, s8
	v_lshlrev_b32_e32 v4, 4, v8
	s_mov_b32 s9, exec_lo
	s_or_b32 exec_lo, exec_lo, s7
	s_and_b32 vcc_lo, exec_lo, s6
	s_cbranch_vccnz .LBB30_67
	s_branch .LBB30_74
.LBB30_65:
                                        ; implicit-def: $vgpr2_vgpr3
                                        ; implicit-def: $vgpr4
	s_cbranch_execnz .LBB30_67
	s_branch .LBB30_74
.LBB30_66:
	s_or_b32 exec_lo, exec_lo, s7
	s_delay_alu instid0(SALU_CYCLE_1)
	s_and_b32 vcc_lo, exec_lo, s6
	s_cbranch_vccz .LBB30_74
.LBB30_67:
                                        ; implicit-def: $vgpr2_vgpr3
                                        ; implicit-def: $vgpr4
	s_and_saveexec_b32 s6, s4
	s_cbranch_execz .LBB30_73
; %bb.68:
	v_mov_b32_e32 v2, 0
	v_mov_b32_e32 v3, 0
	s_delay_alu instid0(VALU_DEP_2) | instskip(SKIP_1) | instid1(VALU_DEP_2)
	v_mov_b32_e32 v0, v2
	s_mov_b32 s7, exec_lo
	v_mov_b32_e32 v1, v3
	v_cmpx_gt_u16_e32 16, v8
	s_cbranch_execz .LBB30_72
; %bb.69:
	v_lshlrev_b32_e32 v0, 4, v7
	v_mov_b32_e32 v2, 0
	v_mov_b32_e32 v3, 0
	s_movk_i32 s8, 0x110
	v_add_nc_u32_e32 v4, -1, v8
	v_lshl_add_u32 v5, v8, 8, v0
	s_delay_alu instid0(VALU_DEP_3)
	v_dual_mov_b32 v0, v2 :: v_dual_mov_b32 v1, v3
	v_mad_u32_u24 v6, v8, s8, 0x2000
	s_mov_b32 s8, 0
	.p2align	6
.LBB30_70:                              ; =>This Inner Loop Header: Depth=1
	ds_load_b128 v[12:15], v6
	ds_load_b128 v[16:19], v5
	v_add_nc_u32_e32 v4, 1, v4
	v_add_nc_u32_e32 v5, 0x100, v5
	v_add_nc_u32_e32 v6, 16, v6
	s_delay_alu instid0(VALU_DEP_3) | instskip(SKIP_4) | instid1(VALU_DEP_2)
	v_cmp_lt_u32_e32 vcc_lo, 14, v4
	s_or_b32 s8, vcc_lo, s8
	s_waitcnt lgkmcnt(0)
	v_mul_f64 v[20:21], v[14:15], v[18:19]
	v_mul_f64 v[18:19], v[12:13], v[18:19]
	v_fma_f64 v[12:13], v[12:13], v[16:17], -v[20:21]
	s_delay_alu instid0(VALU_DEP_2) | instskip(NEXT) | instid1(VALU_DEP_2)
	v_fma_f64 v[14:15], v[14:15], v[16:17], v[18:19]
	v_add_f64 v[0:1], v[0:1], v[12:13]
	s_delay_alu instid0(VALU_DEP_2)
	v_add_f64 v[2:3], v[2:3], v[14:15]
	s_and_not1_b32 exec_lo, exec_lo, s8
	s_cbranch_execnz .LBB30_70
; %bb.71:
	s_or_b32 exec_lo, exec_lo, s8
.LBB30_72:
	s_delay_alu instid0(SALU_CYCLE_1)
	s_or_b32 exec_lo, exec_lo, s7
	v_lshlrev_b32_e32 v4, 4, v8
	s_or_b32 s9, s9, exec_lo
.LBB30_73:
	s_or_b32 exec_lo, exec_lo, s6
.LBB30_74:
	s_and_saveexec_b32 s6, s9
	s_cbranch_execz .LBB30_76
; %bb.75:
	v_add_lshl_u32 v4, v4, v7, 4
	ds_store_b128 v4, v[0:3] offset:4096
.LBB30_76:
	s_or_b32 exec_lo, exec_lo, s6
	s_clause 0x1
	s_load_b32 s6, s[0:1], 0x48
	s_load_b64 s[10:11], s[0:1], 0x58
	s_lshl_b64 s[0:1], s[16:17], 4
	s_waitcnt lgkmcnt(0)
	s_barrier
	buffer_gl0_inv
	s_ashr_i32 s7, s6, 31
	s_add_u32 s12, s14, s0
	s_addc_u32 s13, s15, s1
	s_lshl_b64 s[8:9], s[6:7], 5
	s_mul_i32 s11, s24, s11
	s_add_u32 s8, s8, 32
	s_addc_u32 s9, s9, 0
	s_mul_hi_u32 s16, s8, s25
	s_mul_i32 s9, s9, s25
	s_mul_i32 s8, s8, s25
	s_add_i32 s9, s16, s9
	s_mul_hi_u32 s16, s24, s10
	s_lshl_b64 s[8:9], s[8:9], 4
	s_mul_i32 s10, s24, s10
	s_add_u32 s12, s12, s8
	s_addc_u32 s13, s13, s9
	s_add_i32 s11, s16, s11
	s_delay_alu instid0(SALU_CYCLE_1) | instskip(NEXT) | instid1(SALU_CYCLE_1)
	s_lshl_b64 s[10:11], s[10:11], 4
	s_add_u32 s12, s12, s10
	s_addc_u32 s13, s13, s11
	s_and_b32 vcc_lo, exec_lo, s5
	s_cbranch_vccz .LBB30_82
; %bb.77:
	s_mov_b32 s17, 0
	s_mov_b32 s16, 0
                                        ; implicit-def: $vgpr0_vgpr1
                                        ; implicit-def: $vgpr4_vgpr5
	s_and_saveexec_b32 s18, s4
	s_cbranch_execz .LBB30_81
; %bb.78:
	v_sub_nc_u32_e32 v0, s22, v7
	v_dual_mov_b32 v2, 0 :: v_dual_add_nc_u32 v5, -1, v7
	v_dual_mov_b32 v3, 0 :: v_dual_lshlrev_b32 v4, 4, v7
	s_delay_alu instid0(VALU_DEP_3) | instskip(SKIP_2) | instid1(SALU_CYCLE_1)
	v_mul_i32_i24_e32 v0, s22, v0
	v_mad_u32_u24 v1, s22, v8, v7
	s_lshl_b32 s19, s22, 4
	s_sub_i32 s19, 0, s19
	s_delay_alu instid0(VALU_DEP_2) | instskip(NEXT) | instid1(VALU_DEP_2)
	v_lshlrev_b32_e32 v0, 4, v0
	v_lshl_add_u32 v6, v1, 4, 0x1000
	s_delay_alu instid0(VALU_DEP_2) | instskip(NEXT) | instid1(VALU_DEP_1)
	v_sub_nc_u32_e32 v0, v0, v4
	v_add_nc_u32_e32 v10, 0x1ff0, v0
	v_dual_mov_b32 v0, v2 :: v_dual_mov_b32 v1, v3
	.p2align	6
.LBB30_79:                              ; =>This Inner Loop Header: Depth=1
	ds_load_b128 v[12:15], v10
	ds_load_b128 v[16:19], v6
	v_add_nc_u32_e32 v5, 1, v5
	v_add_nc_u32_e32 v6, 16, v6
	;; [unrolled: 1-line block ×3, first 2 shown]
	s_delay_alu instid0(VALU_DEP_3) | instskip(SKIP_4) | instid1(VALU_DEP_2)
	v_cmp_lt_u32_e32 vcc_lo, 14, v5
	s_or_b32 s16, vcc_lo, s16
	s_waitcnt lgkmcnt(0)
	v_mul_f64 v[20:21], v[12:13], v[16:17]
	v_mul_f64 v[12:13], v[12:13], v[18:19]
	v_fma_f64 v[18:19], v[14:15], v[18:19], -v[20:21]
	s_delay_alu instid0(VALU_DEP_2) | instskip(NEXT) | instid1(VALU_DEP_2)
	v_fma_f64 v[12:13], v[16:17], -v[14:15], -v[12:13]
	v_add_f64 v[2:3], v[2:3], v[18:19]
	s_delay_alu instid0(VALU_DEP_2)
	v_add_f64 v[0:1], v[0:1], v[12:13]
	s_and_not1_b32 exec_lo, exec_lo, s16
	s_cbranch_execnz .LBB30_79
; %bb.80:
	s_or_b32 exec_lo, exec_lo, s16
	v_mad_i64_i32 v[5:6], null, v8, s6, 0
	s_mul_hi_i32 s21, s22, s6
	s_mul_i32 s20, s22, s6
	s_mov_b32 s16, exec_lo
	s_lshl_b64 s[20:21], s[20:21], 4
	s_delay_alu instid0(SALU_CYCLE_1) | instskip(NEXT) | instid1(VALU_DEP_1)
	s_add_u32 s19, s12, s20
	v_lshlrev_b64 v[5:6], 4, v[5:6]
	s_addc_u32 s20, s13, s21
	v_add_co_u32 v4, s19, s19, v4
	s_delay_alu instid0(VALU_DEP_1) | instskip(NEXT) | instid1(VALU_DEP_2)
	v_add_co_ci_u32_e64 v10, null, s20, 0, s19
	v_add_co_u32 v4, vcc_lo, v4, v5
	s_delay_alu instid0(VALU_DEP_2)
	v_add_co_ci_u32_e32 v5, vcc_lo, v10, v6, vcc_lo
	global_store_b64 v[4:5], v[2:3], off
.LBB30_81:
	s_or_b32 exec_lo, exec_lo, s18
	s_delay_alu instid0(SALU_CYCLE_1)
	s_and_b32 vcc_lo, exec_lo, s17
	s_cbranch_vccnz .LBB30_83
	s_branch .LBB30_94
.LBB30_82:
	s_mov_b32 s16, 0
                                        ; implicit-def: $vgpr0_vgpr1
                                        ; implicit-def: $vgpr4_vgpr5
	s_cbranch_execz .LBB30_94
.LBB30_83:
                                        ; implicit-def: $vgpr0_vgpr1
                                        ; implicit-def: $vgpr4_vgpr5
	s_and_saveexec_b32 s17, s4
	s_cbranch_execz .LBB30_93
; %bb.84:
	v_dual_mov_b32 v0, 0 :: v_dual_add_nc_u32 v13, 1, v7
	v_dual_mov_b32 v1, 0 :: v_dual_mov_b32 v12, 0
	v_mul_u32_u24_e32 v10, s22, v8
	s_mov_b32 s4, exec_lo
	s_delay_alu instid0(VALU_DEP_2)
	v_dual_mov_b32 v3, v1 :: v_dual_mov_b32 v2, v0
	v_cmpx_lt_u16_e32 2, v7
	s_cbranch_execz .LBB30_88
; %bb.85:
	v_lshl_add_u32 v4, v7, 4, 0x3000
	v_mov_b32_e32 v2, 0
	v_dual_mov_b32 v3, 0 :: v_dual_and_b32 v12, 60, v13
	v_lshl_add_u32 v14, v10, 4, 0x1000
	s_delay_alu instid0(VALU_DEP_4)
	v_mad_u64_u32 v[5:6], null, s22, 48, v[4:5]
	v_lshl_add_u32 v6, s22, 4, v4
	v_lshl_add_u32 v15, s22, 5, v4
	v_dual_mov_b32 v0, v2 :: v_dual_mov_b32 v1, v3
	s_lshl_b32 s19, s22, 6
	s_mov_b32 s18, 0
	s_mov_b32 s20, 0
.LBB30_86:                              ; =>This Inner Loop Header: Depth=1
	ds_load_b128 v[16:19], v4
	ds_load_b128 v[20:23], v14
	ds_load_b128 v[24:27], v14 offset:16
	ds_load_b128 v[28:31], v5
	ds_load_b128 v[32:35], v6
	;; [unrolled: 1-line block ×3, first 2 shown]
	s_add_i32 s20, s20, 4
	v_add_nc_u32_e32 v6, s19, v6
	v_cmp_eq_u32_e32 vcc_lo, s20, v12
	v_add_nc_u32_e32 v15, s19, v15
	v_add_nc_u32_e32 v5, s19, v5
	;; [unrolled: 1-line block ×3, first 2 shown]
	s_or_b32 s18, vcc_lo, s18
	s_waitcnt lgkmcnt(4)
	v_mul_f64 v[40:41], v[16:17], v[20:21]
	v_mul_f64 v[16:17], v[16:17], v[22:23]
	s_waitcnt lgkmcnt(1)
	v_mul_f64 v[42:43], v[32:33], v[24:25]
	v_mul_f64 v[32:33], v[32:33], v[26:27]
	s_delay_alu instid0(VALU_DEP_4) | instskip(NEXT) | instid1(VALU_DEP_4)
	v_fma_f64 v[40:41], v[18:19], v[22:23], -v[40:41]
	v_fma_f64 v[44:45], v[20:21], -v[18:19], -v[16:17]
	ds_load_b128 v[16:19], v14 offset:32
	ds_load_b128 v[20:23], v14 offset:48
	v_fma_f64 v[26:27], v[34:35], v[26:27], -v[42:43]
	v_fma_f64 v[24:25], v[24:25], -v[34:35], -v[32:33]
	v_add_nc_u32_e32 v14, 64, v14
	s_waitcnt lgkmcnt(1)
	v_mul_f64 v[46:47], v[36:37], v[16:17]
	v_mul_f64 v[36:37], v[36:37], v[18:19]
	s_waitcnt lgkmcnt(0)
	v_mul_f64 v[32:33], v[28:29], v[20:21]
	v_mul_f64 v[28:29], v[28:29], v[22:23]
	v_add_f64 v[2:3], v[2:3], v[40:41]
	v_add_f64 v[0:1], v[0:1], v[44:45]
	v_fma_f64 v[18:19], v[38:39], v[18:19], -v[46:47]
	v_fma_f64 v[16:17], v[16:17], -v[38:39], -v[36:37]
	v_fma_f64 v[22:23], v[30:31], v[22:23], -v[32:33]
	v_fma_f64 v[20:21], v[20:21], -v[30:31], -v[28:29]
	v_add_f64 v[2:3], v[2:3], v[26:27]
	v_add_f64 v[0:1], v[0:1], v[24:25]
	s_delay_alu instid0(VALU_DEP_2) | instskip(NEXT) | instid1(VALU_DEP_2)
	v_add_f64 v[2:3], v[2:3], v[18:19]
	v_add_f64 v[0:1], v[0:1], v[16:17]
	s_delay_alu instid0(VALU_DEP_2) | instskip(NEXT) | instid1(VALU_DEP_2)
	v_add_f64 v[2:3], v[2:3], v[22:23]
	v_add_f64 v[0:1], v[0:1], v[20:21]
	s_and_not1_b32 exec_lo, exec_lo, s18
	s_cbranch_execnz .LBB30_86
; %bb.87:
	s_or_b32 exec_lo, exec_lo, s18
.LBB30_88:
	s_delay_alu instid0(SALU_CYCLE_1) | instskip(SKIP_3) | instid1(VALU_DEP_1)
	s_or_b32 exec_lo, exec_lo, s4
	v_and_b32_e32 v4, 3, v13
	s_mov_b32 s18, 0
	s_mov_b32 s4, exec_lo
	v_cmpx_ne_u32_e32 0, v4
	s_cbranch_execz .LBB30_92
; %bb.89:
	v_add_nc_u32_e32 v5, v10, v12
	v_mad_u32_u24 v6, v12, s22, v7
	s_lshl_b32 s19, s22, 4
	s_delay_alu instid0(VALU_DEP_2) | instskip(NEXT) | instid1(VALU_DEP_2)
	v_lshl_add_u32 v5, v5, 4, 0x1000
	v_lshl_add_u32 v6, v6, 4, 0x3000
	.p2align	6
.LBB30_90:                              ; =>This Inner Loop Header: Depth=1
	ds_load_b128 v[12:15], v6
	ds_load_b128 v[16:19], v5
	v_add_nc_u32_e32 v4, -1, v4
	v_add_nc_u32_e32 v5, 16, v5
	v_add_nc_u32_e32 v6, s19, v6
	s_delay_alu instid0(VALU_DEP_3) | instskip(SKIP_4) | instid1(VALU_DEP_2)
	v_cmp_eq_u32_e32 vcc_lo, 0, v4
	s_or_b32 s18, vcc_lo, s18
	s_waitcnt lgkmcnt(0)
	v_mul_f64 v[20:21], v[12:13], v[16:17]
	v_mul_f64 v[12:13], v[12:13], v[18:19]
	v_fma_f64 v[18:19], v[14:15], v[18:19], -v[20:21]
	s_delay_alu instid0(VALU_DEP_2) | instskip(NEXT) | instid1(VALU_DEP_2)
	v_fma_f64 v[12:13], v[16:17], -v[14:15], -v[12:13]
	v_add_f64 v[2:3], v[2:3], v[18:19]
	s_delay_alu instid0(VALU_DEP_2)
	v_add_f64 v[0:1], v[0:1], v[12:13]
	s_and_not1_b32 exec_lo, exec_lo, s18
	s_cbranch_execnz .LBB30_90
; %bb.91:
	s_or_b32 exec_lo, exec_lo, s18
.LBB30_92:
	s_delay_alu instid0(SALU_CYCLE_1) | instskip(SKIP_3) | instid1(VALU_DEP_2)
	s_or_b32 exec_lo, exec_lo, s4
	v_mad_i64_i32 v[4:5], null, v8, s6, 0
	v_add_lshl_u32 v6, s22, v7, 4
	s_or_b32 s16, s16, exec_lo
	v_lshlrev_b64 v[4:5], 4, v[4:5]
	s_delay_alu instid0(VALU_DEP_1) | instskip(NEXT) | instid1(VALU_DEP_2)
	v_add_co_u32 v4, vcc_lo, s12, v4
	v_add_co_ci_u32_e32 v5, vcc_lo, s13, v5, vcc_lo
	s_delay_alu instid0(VALU_DEP_2) | instskip(NEXT) | instid1(VALU_DEP_2)
	v_add_co_u32 v4, vcc_lo, v4, v6
	v_add_co_ci_u32_e32 v5, vcc_lo, 0, v5, vcc_lo
	global_store_b64 v[4:5], v[2:3], off
.LBB30_93:
	s_or_b32 exec_lo, exec_lo, s17
.LBB30_94:
	s_and_saveexec_b32 s4, s16
	s_cbranch_execnz .LBB30_96
; %bb.95:
	s_or_b32 exec_lo, exec_lo, s4
	s_and_saveexec_b32 s4, s3
	s_cbranch_execnz .LBB30_97
	s_branch .LBB30_108
.LBB30_96:
	global_store_b64 v[4:5], v[0:1], off offset:8
	s_or_b32 exec_lo, exec_lo, s4
	s_and_saveexec_b32 s4, s3
	s_cbranch_execz .LBB30_108
.LBB30_97:
	v_mov_b32_e32 v0, 0
	v_mov_b32_e32 v1, 0
	s_and_saveexec_b32 s3, s2
	s_cbranch_execnz .LBB30_100
; %bb.98:
	s_or_b32 exec_lo, exec_lo, s3
	s_delay_alu instid0(SALU_CYCLE_1)
	s_and_b32 vcc_lo, exec_lo, s5
	s_mov_b32 s2, -1
	s_cbranch_vccnz .LBB30_101
.LBB30_99:
	s_and_not1_b32 vcc_lo, exec_lo, s2
	s_cbranch_vccz .LBB30_105
	s_branch .LBB30_108
.LBB30_100:
	s_add_u32 s2, s6, 1
	s_addc_u32 s4, s7, 0
	s_mul_hi_u32 s16, s2, s22
	s_mul_i32 s4, s4, s22
	s_delay_alu instid0(SALU_CYCLE_1) | instskip(SKIP_1) | instid1(SALU_CYCLE_1)
	s_add_i32 s17, s16, s4
	s_mul_i32 s16, s2, s22
	v_dual_mov_b32 v0, s16 :: v_dual_mov_b32 v1, s17
	s_or_b32 exec_lo, exec_lo, s3
	s_delay_alu instid0(SALU_CYCLE_1)
	s_and_b32 vcc_lo, exec_lo, s5
	s_mov_b32 s2, -1
	s_cbranch_vccz .LBB30_99
.LBB30_101:
	s_mov_b32 s2, exec_lo
	v_cmpx_gt_i32_e64 s22, v9
	s_cbranch_execz .LBB30_104
; %bb.102:
	s_cmp_lt_u32 s23, 16
	v_xad_u32 v2, v9, -1, s22
	s_cselect_b32 s3, s23, 16
	s_cselect_b32 s4, 0, 0
	s_add_u32 s3, s3, -1
	s_addc_u32 s4, s4, -1
	s_mul_i32 s5, s3, s7
	s_mul_hi_u32 s16, s3, s6
	s_mul_i32 s4, s4, s6
	s_add_i32 s5, s16, s5
	v_lshl_add_u32 v4, v2, 4, v11
	s_add_i32 s5, s5, s4
	s_mul_i32 s4, s3, s6
	v_ashrrev_i32_e32 v10, 31, v9
	s_lshl_b64 s[4:5], s[4:5], 4
	v_lshlrev_b64 v[2:3], 4, v[0:1]
	s_add_u32 s3, s4, s10
	s_addc_u32 s4, s5, s11
	s_add_u32 s3, s3, s8
	s_addc_u32 s4, s4, s9
	s_add_u32 s0, s0, s3
	v_lshlrev_b64 v[5:6], 4, v[9:10]
	s_addc_u32 s1, s1, s4
	v_add_co_u32 v2, vcc_lo, s0, v2
	v_add_co_ci_u32_e32 v3, vcc_lo, s1, v3, vcc_lo
	s_lshl_b64 s[4:5], s[6:7], 4
	s_delay_alu instid0(VALU_DEP_2) | instskip(NEXT) | instid1(VALU_DEP_2)
	v_add_co_u32 v2, vcc_lo, v2, v5
	v_add_co_ci_u32_e32 v3, vcc_lo, v3, v6, vcc_lo
	s_sub_u32 s3, 0, s4
	s_delay_alu instid0(VALU_DEP_2) | instskip(NEXT) | instid1(VALU_DEP_2)
	v_add_co_u32 v2, vcc_lo, s14, v2
	v_add_co_ci_u32_e32 v3, vcc_lo, s15, v3, vcc_lo
	s_mov_b32 s1, 0
	s_subb_u32 s4, 0, s5
	s_lshl_b32 s5, s22, 4
	s_mov_b32 s8, s22
.LBB30_103:                             ; =>This Inner Loop Header: Depth=1
	ds_load_2addr_b64 v[5:8], v4 offset1:1
	s_add_i32 s8, s8, -1
	v_add_nc_u32_e32 v4, s5, v4
	v_cmp_le_i32_e32 vcc_lo, s8, v9
	s_or_b32 s1, vcc_lo, s1
	s_waitcnt lgkmcnt(0)
	global_store_b128 v[2:3], v[5:8], off
	v_add_co_u32 v2, s0, v2, s3
	s_delay_alu instid0(VALU_DEP_1)
	v_add_co_ci_u32_e64 v3, s0, s4, v3, s0
	s_and_not1_b32 exec_lo, exec_lo, s1
	s_cbranch_execnz .LBB30_103
.LBB30_104:
	s_or_b32 exec_lo, exec_lo, s2
	s_cbranch_execnz .LBB30_108
.LBB30_105:
	v_cmp_lt_i32_e32 vcc_lo, -1, v9
	s_and_b32 exec_lo, exec_lo, vcc_lo
	s_cbranch_execz .LBB30_108
; %bb.106:
	v_mov_b32_e32 v10, 0
	v_lshlrev_b64 v[0:1], 4, v[0:1]
	v_lshl_add_u32 v2, v9, 4, v11
	s_lshl_b64 s[2:3], s[6:7], 4
	s_lshl_b32 s1, s22, 4
	v_lshlrev_b64 v[3:4], 4, v[9:10]
	s_mov_b32 s4, 0
	v_add_co_u32 v0, vcc_lo, s12, v0
	v_add_co_ci_u32_e32 v1, vcc_lo, s13, v1, vcc_lo
	s_delay_alu instid0(VALU_DEP_2) | instskip(SKIP_1) | instid1(VALU_DEP_3)
	v_add_co_u32 v0, vcc_lo, v0, v3
	v_add_nc_u32_e32 v3, 1, v9
	v_add_co_ci_u32_e32 v1, vcc_lo, v1, v4, vcc_lo
.LBB30_107:                             ; =>This Inner Loop Header: Depth=1
	ds_load_2addr_b64 v[4:7], v2 offset1:1
	v_add_nc_u32_e32 v3, -1, v3
	v_add_nc_u32_e32 v2, s1, v2
	s_delay_alu instid0(VALU_DEP_2) | instskip(SKIP_4) | instid1(VALU_DEP_1)
	v_cmp_eq_u32_e32 vcc_lo, 0, v3
	s_or_b32 s4, vcc_lo, s4
	s_waitcnt lgkmcnt(0)
	global_store_b128 v[0:1], v[4:7], off
	v_add_co_u32 v0, s0, v0, s2
	v_add_co_ci_u32_e64 v1, s0, s3, v1, s0
	s_and_not1_b32 exec_lo, exec_lo, s4
	s_cbranch_execnz .LBB30_107
.LBB30_108:
	s_nop 0
	s_sendmsg sendmsg(MSG_DEALLOC_VGPRS)
	s_endpgm
	.section	.rodata,"a",@progbits
	.p2align	6, 0x0
	.amdhsa_kernel _ZL29rocblas_trtri_diagonal_kernelILi16E19rocblas_complex_numIdEPKPKS1_PKPS1_Ev13rocblas_fill_17rocblas_diagonal_iT1_lillT2_lilli
		.amdhsa_group_segment_fixed_size 16384
		.amdhsa_private_segment_fixed_size 0
		.amdhsa_kernarg_size 100
		.amdhsa_user_sgpr_count 14
		.amdhsa_user_sgpr_dispatch_ptr 0
		.amdhsa_user_sgpr_queue_ptr 0
		.amdhsa_user_sgpr_kernarg_segment_ptr 1
		.amdhsa_user_sgpr_dispatch_id 0
		.amdhsa_user_sgpr_private_segment_size 0
		.amdhsa_wavefront_size32 1
		.amdhsa_uses_dynamic_stack 0
		.amdhsa_enable_private_segment 0
		.amdhsa_system_sgpr_workgroup_id_x 1
		.amdhsa_system_sgpr_workgroup_id_y 0
		.amdhsa_system_sgpr_workgroup_id_z 1
		.amdhsa_system_sgpr_workgroup_info 0
		.amdhsa_system_vgpr_workitem_id 0
		.amdhsa_next_free_vgpr 48
		.amdhsa_next_free_sgpr 37
		.amdhsa_reserve_vcc 1
		.amdhsa_float_round_mode_32 0
		.amdhsa_float_round_mode_16_64 0
		.amdhsa_float_denorm_mode_32 3
		.amdhsa_float_denorm_mode_16_64 3
		.amdhsa_dx10_clamp 1
		.amdhsa_ieee_mode 1
		.amdhsa_fp16_overflow 0
		.amdhsa_workgroup_processor_mode 1
		.amdhsa_memory_ordered 1
		.amdhsa_forward_progress 0
		.amdhsa_shared_vgpr_count 0
		.amdhsa_exception_fp_ieee_invalid_op 0
		.amdhsa_exception_fp_denorm_src 0
		.amdhsa_exception_fp_ieee_div_zero 0
		.amdhsa_exception_fp_ieee_overflow 0
		.amdhsa_exception_fp_ieee_underflow 0
		.amdhsa_exception_fp_ieee_inexact 0
		.amdhsa_exception_int_div_zero 0
	.end_amdhsa_kernel
	.section	.text._ZL29rocblas_trtri_diagonal_kernelILi16E19rocblas_complex_numIdEPKPKS1_PKPS1_Ev13rocblas_fill_17rocblas_diagonal_iT1_lillT2_lilli,"axG",@progbits,_ZL29rocblas_trtri_diagonal_kernelILi16E19rocblas_complex_numIdEPKPKS1_PKPS1_Ev13rocblas_fill_17rocblas_diagonal_iT1_lillT2_lilli,comdat
.Lfunc_end30:
	.size	_ZL29rocblas_trtri_diagonal_kernelILi16E19rocblas_complex_numIdEPKPKS1_PKPS1_Ev13rocblas_fill_17rocblas_diagonal_iT1_lillT2_lilli, .Lfunc_end30-_ZL29rocblas_trtri_diagonal_kernelILi16E19rocblas_complex_numIdEPKPKS1_PKPS1_Ev13rocblas_fill_17rocblas_diagonal_iT1_lillT2_lilli
                                        ; -- End function
	.section	.AMDGPU.csdata,"",@progbits
; Kernel info:
; codeLenInByte = 5488
; NumSgprs: 39
; NumVgprs: 48
; ScratchSize: 0
; MemoryBound: 1
; FloatMode: 240
; IeeeMode: 1
; LDSByteSize: 16384 bytes/workgroup (compile time only)
; SGPRBlocks: 4
; VGPRBlocks: 5
; NumSGPRsForWavesPerEU: 39
; NumVGPRsForWavesPerEU: 48
; Occupancy: 16
; WaveLimiterHint : 1
; COMPUTE_PGM_RSRC2:SCRATCH_EN: 0
; COMPUTE_PGM_RSRC2:USER_SGPR: 14
; COMPUTE_PGM_RSRC2:TRAP_HANDLER: 0
; COMPUTE_PGM_RSRC2:TGID_X_EN: 1
; COMPUTE_PGM_RSRC2:TGID_Y_EN: 0
; COMPUTE_PGM_RSRC2:TGID_Z_EN: 1
; COMPUTE_PGM_RSRC2:TIDIG_COMP_CNT: 0
	.section	.text._ZL30rocblas_trtri_remainder_kernelILi16E19rocblas_complex_numIdEPKPKS1_PKPS1_Ev13rocblas_fill_17rocblas_diagonal_iT1_lillT2_lilli,"axG",@progbits,_ZL30rocblas_trtri_remainder_kernelILi16E19rocblas_complex_numIdEPKPKS1_PKPS1_Ev13rocblas_fill_17rocblas_diagonal_iT1_lillT2_lilli,comdat
	.globl	_ZL30rocblas_trtri_remainder_kernelILi16E19rocblas_complex_numIdEPKPKS1_PKPS1_Ev13rocblas_fill_17rocblas_diagonal_iT1_lillT2_lilli ; -- Begin function _ZL30rocblas_trtri_remainder_kernelILi16E19rocblas_complex_numIdEPKPKS1_PKPS1_Ev13rocblas_fill_17rocblas_diagonal_iT1_lillT2_lilli
	.p2align	8
	.type	_ZL30rocblas_trtri_remainder_kernelILi16E19rocblas_complex_numIdEPKPKS1_PKPS1_Ev13rocblas_fill_17rocblas_diagonal_iT1_lillT2_lilli,@function
_ZL30rocblas_trtri_remainder_kernelILi16E19rocblas_complex_numIdEPKPKS1_PKPS1_Ev13rocblas_fill_17rocblas_diagonal_iT1_lillT2_lilli: ; @_ZL30rocblas_trtri_remainder_kernelILi16E19rocblas_complex_numIdEPKPKS1_PKPS1_Ev13rocblas_fill_17rocblas_diagonal_iT1_lillT2_lilli
; %bb.0:
	s_load_b128 s[8:11], s[0:1], 0x0
	s_waitcnt lgkmcnt(0)
	s_cmp_lt_i32 s10, 1
	s_cbranch_scc1 .LBB31_51
; %bb.1:
	s_clause 0x1
	s_load_b128 s[16:19], s[0:1], 0x30
	s_load_b64 s[20:21], s[0:1], 0x40
	s_mov_b32 s2, s15
	s_mov_b32 s3, 0
	s_delay_alu instid0(SALU_CYCLE_1)
	s_lshl_b64 s[22:23], s[2:3], 3
	s_waitcnt lgkmcnt(0)
	s_add_u32 s2, s18, s22
	s_addc_u32 s3, s19, s23
	s_load_b64 s[12:13], s[2:3], 0x0
	v_cmp_le_u32_e64 s3, s10, v0
	v_cmp_gt_u32_e64 s2, s10, v0
	s_delay_alu instid0(VALU_DEP_1)
	s_and_saveexec_b32 s11, s2
	s_cbranch_execz .LBB31_14
; %bb.2:
	s_clause 0x1
	s_load_b128 s[4:7], s[0:1], 0x10
	s_load_b32 s18, s[0:1], 0x20
	s_waitcnt lgkmcnt(0)
	s_add_u32 s4, s4, s22
	s_addc_u32 s5, s5, s23
	s_load_b64 s[22:23], s[4:5], 0x0
	s_mul_i32 s4, s14, s17
	s_mul_hi_u32 s5, s14, s16
	s_mul_i32 s16, s14, s16
	s_add_i32 s17, s5, s4
	s_cmpk_lg_i32 s8, 0x7a
	s_mov_b32 s4, -1
	s_cbranch_scc0 .LBB31_6
; %bb.3:
	s_ashr_i32 s19, s18, 31
	s_lshl_b32 s5, s10, 4
	s_ashr_i32 s4, s10, 31
	s_add_u32 s15, s10, -1
	s_addc_u32 s4, s4, -1
	s_mul_i32 s24, s15, s19
	s_mul_hi_u32 s25, s15, s18
	s_mul_i32 s4, s4, s18
	s_add_i32 s24, s25, s24
	s_lshl_b64 s[26:27], s[16:17], 4
	s_add_i32 s25, s24, s4
	s_mul_i32 s24, s15, s18
	v_lshlrev_b32_e32 v1, 4, v0
	s_lshl_b64 s[24:25], s[24:25], 4
	s_delay_alu instid0(SALU_CYCLE_1)
	s_add_u32 s4, s24, s26
	s_addc_u32 s15, s25, s27
	s_lshl_b64 s[24:25], s[6:7], 4
	v_sub_nc_u32_e32 v2, s5, v1
	s_add_u32 s4, s4, s24
	s_addc_u32 s15, s15, s25
	s_waitcnt lgkmcnt(0)
	s_add_u32 s4, s22, s4
	s_addc_u32 s15, s23, s15
	v_add_co_u32 v1, s4, s4, v1
	v_add_nc_u32_e32 v3, -16, v2
	s_lshl_b64 s[24:25], s[18:19], 4
	v_add_co_ci_u32_e64 v2, null, s15, 0, s4
	s_sub_u32 s15, 0, s24
	s_subb_u32 s24, 0, s25
	s_mov_b32 s19, 0
	s_mov_b32 s25, s10
.LBB31_4:                               ; =>This Inner Loop Header: Depth=1
	global_load_b128 v[4:7], v[1:2], off
	s_add_i32 s25, s25, -1
	v_add_co_u32 v1, vcc_lo, v1, s15
	v_cmp_le_i32_e64 s4, s25, v0
	v_add_co_ci_u32_e32 v2, vcc_lo, s24, v2, vcc_lo
	s_delay_alu instid0(VALU_DEP_2)
	s_or_b32 s19, s4, s19
	s_waitcnt vmcnt(0)
	ds_store_2addr_b64 v3, v[4:5], v[6:7] offset1:1
	v_add_nc_u32_e32 v3, s5, v3
	s_and_not1_b32 exec_lo, exec_lo, s19
	s_cbranch_execnz .LBB31_4
; %bb.5:
	s_or_b32 exec_lo, exec_lo, s19
	s_mov_b32 s4, 0
.LBB31_6:
	s_delay_alu instid0(SALU_CYCLE_1)
	s_and_b32 vcc_lo, exec_lo, s4
	s_cbranch_vccz .LBB31_14
; %bb.7:
	v_dual_mov_b32 v3, 0 :: v_dual_add_nc_u32 v4, 1, v0
	s_ashr_i32 s19, s18, 31
	s_mov_b32 s5, exec_lo
	v_cmpx_lt_u32_e32 2, v0
	s_cbranch_execz .LBB31_11
; %bb.8:
	s_lshl_b64 s[24:25], s[6:7], 4
	v_lshlrev_b32_e32 v5, 4, v0
	s_waitcnt lgkmcnt(0)
	s_add_u32 s4, s22, s24
	s_addc_u32 s15, s23, s25
	s_lshl_b64 s[24:25], s[16:17], 4
	v_and_b32_e32 v3, 0x7fc, v4
	s_add_u32 s4, s4, s24
	s_addc_u32 s15, s15, s25
	v_add_co_u32 v1, s4, s4, v5
	s_delay_alu instid0(VALU_DEP_1)
	v_add_co_ci_u32_e64 v2, null, s15, 0, s4
	s_mul_hi_i32 s15, s18, 48
	s_mul_i32 s30, s18, 48
	s_lshl_b64 s[24:25], s[18:19], 6
	s_lshl_b64 s[26:27], s[18:19], 5
	;; [unrolled: 1-line block ×3, first 2 shown]
	s_lshl_b32 s31, s10, 4
	s_lshl_b32 s33, s10, 6
	;; [unrolled: 1-line block ×3, first 2 shown]
	s_mul_i32 s36, s10, 48
	s_mov_b32 s35, 0
	s_mov_b32 s37, 0
	s_set_inst_prefetch_distance 0x1
	.p2align	6
.LBB31_9:                               ; =>This Inner Loop Header: Depth=1
	v_add_co_u32 v10, vcc_lo, v1, s28
	v_add_co_ci_u32_e32 v11, vcc_lo, s29, v2, vcc_lo
	v_add_co_u32 v14, vcc_lo, v1, s26
	v_add_co_ci_u32_e32 v15, vcc_lo, s27, v2, vcc_lo
	;; [unrolled: 2-line block ×3, first 2 shown]
	s_clause 0x3
	global_load_b128 v[6:9], v[1:2], off
	global_load_b128 v[10:13], v[10:11], off
	;; [unrolled: 1-line block ×4, first 2 shown]
	s_add_i32 s37, s37, 4
	v_add_co_u32 v1, s4, v1, s24
	v_cmp_eq_u32_e32 vcc_lo, s37, v3
	v_add_nc_u32_e32 v22, s31, v5
	v_add_nc_u32_e32 v23, s34, v5
	;; [unrolled: 1-line block ×3, first 2 shown]
	v_add_co_ci_u32_e64 v2, s4, s25, v2, s4
	s_or_b32 s35, vcc_lo, s35
	s_waitcnt vmcnt(3)
	ds_store_2addr_b64 v5, v[6:7], v[8:9] offset1:1
	v_add_nc_u32_e32 v5, s33, v5
	s_waitcnt vmcnt(2)
	ds_store_2addr_b64 v22, v[10:11], v[12:13] offset1:1
	s_waitcnt vmcnt(1)
	ds_store_2addr_b64 v23, v[14:15], v[16:17] offset1:1
	;; [unrolled: 2-line block ×3, first 2 shown]
	s_and_not1_b32 exec_lo, exec_lo, s35
	s_cbranch_execnz .LBB31_9
; %bb.10:
	s_set_inst_prefetch_distance 0x2
	s_or_b32 exec_lo, exec_lo, s35
.LBB31_11:
	s_delay_alu instid0(SALU_CYCLE_1) | instskip(SKIP_2) | instid1(VALU_DEP_1)
	s_or_b32 exec_lo, exec_lo, s5
	v_and_b32_e32 v4, 3, v4
	s_mov_b32 s5, 0
	v_cmp_ne_u32_e32 vcc_lo, 0, v4
	s_and_b32 exec_lo, exec_lo, vcc_lo
	s_cbranch_execz .LBB31_14
; %bb.12:
	v_mad_i64_i32 v[1:2], null, s18, v3, 0
	s_lshl_b64 s[16:17], s[16:17], 4
	s_lshl_b64 s[6:7], s[6:7], 4
	s_lshl_b32 s15, s10, 4
	s_add_u32 s4, s6, s16
	v_lshlrev_b32_e32 v5, 4, v0
	s_addc_u32 s6, s7, s17
	s_delay_alu instid0(VALU_DEP_2) | instskip(SKIP_1) | instid1(VALU_DEP_2)
	v_lshlrev_b64 v[1:2], 4, v[1:2]
	v_mul_lo_u32 v3, v3, s10
	v_add_co_u32 v1, vcc_lo, s4, v1
	s_delay_alu instid0(VALU_DEP_3) | instskip(NEXT) | instid1(VALU_DEP_3)
	v_add_co_ci_u32_e32 v2, vcc_lo, s6, v2, vcc_lo
	v_add_lshl_u32 v3, v0, v3, 4
	s_delay_alu instid0(VALU_DEP_3) | instskip(NEXT) | instid1(VALU_DEP_3)
	v_add_co_u32 v1, vcc_lo, v1, v5
	v_add_co_ci_u32_e32 v2, vcc_lo, 0, v2, vcc_lo
	s_lshl_b64 s[6:7], s[18:19], 4
	s_waitcnt lgkmcnt(0)
	s_delay_alu instid0(VALU_DEP_2) | instskip(NEXT) | instid1(VALU_DEP_2)
	v_add_co_u32 v1, vcc_lo, s22, v1
	v_add_co_ci_u32_e32 v2, vcc_lo, s23, v2, vcc_lo
.LBB31_13:                              ; =>This Inner Loop Header: Depth=1
	global_load_b128 v[5:8], v[1:2], off
	v_add_nc_u32_e32 v4, -1, v4
	v_add_co_u32 v1, vcc_lo, v1, s6
	v_add_co_ci_u32_e32 v2, vcc_lo, s7, v2, vcc_lo
	s_delay_alu instid0(VALU_DEP_3) | instskip(NEXT) | instid1(VALU_DEP_1)
	v_cmp_eq_u32_e64 s4, 0, v4
	s_or_b32 s5, s4, s5
	s_waitcnt vmcnt(0)
	ds_store_2addr_b64 v3, v[5:6], v[7:8] offset1:1
	v_add_nc_u32_e32 v3, s15, v3
	s_and_not1_b32 exec_lo, exec_lo, s5
	s_cbranch_execnz .LBB31_13
.LBB31_14:
	s_or_b32 exec_lo, exec_lo, s11
	s_waitcnt lgkmcnt(0)
	s_barrier
	buffer_gl0_inv
                                        ; implicit-def: $vgpr9
	s_and_saveexec_b32 s4, s3
	s_delay_alu instid0(SALU_CYCLE_1)
	s_xor_b32 s3, exec_lo, s4
; %bb.15:
	v_mad_u64_u32 v[9:10], null, v0, s10, v[0:1]
; %bb.16:
	s_and_not1_saveexec_b32 s4, s3
	s_cbranch_execz .LBB31_27
; %bb.17:
	v_mad_u64_u32 v[9:10], null, v0, s10, v[0:1]
	s_cmpk_eq_i32 s9, 0x84
	s_delay_alu instid0(VALU_DEP_1)
	v_lshlrev_b32_e32 v10, 4, v9
	s_cbranch_scc1 .LBB31_25
; %bb.18:
	ds_load_b128 v[1:4], v10
	v_mov_b32_e32 v7, 0
	v_dual_mov_b32 v8, 0 :: v_dual_mov_b32 v5, 0
	v_mov_b32_e32 v6, 0x3ff00000
	s_waitcnt lgkmcnt(0)
	v_cmp_neq_f64_e32 vcc_lo, 0, v[1:2]
	v_cmp_neq_f64_e64 s3, 0, v[3:4]
	s_delay_alu instid0(VALU_DEP_1) | instskip(NEXT) | instid1(SALU_CYCLE_1)
	s_or_b32 s3, vcc_lo, s3
	s_and_saveexec_b32 s5, s3
	s_cbranch_execz .LBB31_24
; %bb.19:
	v_cmp_gt_f64_e32 vcc_lo, 0, v[1:2]
	v_cmp_gt_f64_e64 s3, 0, v[3:4]
	v_xor_b32_e32 v5, 0x80000000, v2
	v_xor_b32_e32 v7, 0x80000000, v4
	s_delay_alu instid0(VALU_DEP_2) | instskip(NEXT) | instid1(VALU_DEP_2)
	v_cndmask_b32_e32 v6, v2, v5, vcc_lo
	v_cndmask_b32_e64 v8, v4, v7, s3
	v_cndmask_b32_e32 v5, v1, v1, vcc_lo
	v_cndmask_b32_e64 v7, v3, v3, s3
	s_delay_alu instid0(VALU_DEP_1) | instskip(SKIP_1) | instid1(SALU_CYCLE_1)
	v_cmp_ngt_f64_e32 vcc_lo, v[5:6], v[7:8]
                                        ; implicit-def: $vgpr7_vgpr8
	s_and_saveexec_b32 s3, vcc_lo
	s_xor_b32 s3, exec_lo, s3
	s_cbranch_execz .LBB31_21
; %bb.20:
	v_div_scale_f64 v[5:6], null, v[3:4], v[3:4], v[1:2]
	v_div_scale_f64 v[13:14], vcc_lo, v[1:2], v[3:4], v[1:2]
	s_delay_alu instid0(VALU_DEP_2) | instskip(SKIP_2) | instid1(VALU_DEP_1)
	v_rcp_f64_e32 v[7:8], v[5:6]
	s_waitcnt_depctr 0xfff
	v_fma_f64 v[11:12], -v[5:6], v[7:8], 1.0
	v_fma_f64 v[7:8], v[7:8], v[11:12], v[7:8]
	s_delay_alu instid0(VALU_DEP_1) | instskip(NEXT) | instid1(VALU_DEP_1)
	v_fma_f64 v[11:12], -v[5:6], v[7:8], 1.0
	v_fma_f64 v[7:8], v[7:8], v[11:12], v[7:8]
	s_delay_alu instid0(VALU_DEP_1) | instskip(NEXT) | instid1(VALU_DEP_1)
	v_mul_f64 v[11:12], v[13:14], v[7:8]
	v_fma_f64 v[5:6], -v[5:6], v[11:12], v[13:14]
	s_delay_alu instid0(VALU_DEP_1) | instskip(NEXT) | instid1(VALU_DEP_1)
	v_div_fmas_f64 v[5:6], v[5:6], v[7:8], v[11:12]
	v_div_fixup_f64 v[5:6], v[5:6], v[3:4], v[1:2]
	s_delay_alu instid0(VALU_DEP_1) | instskip(NEXT) | instid1(VALU_DEP_1)
	v_fma_f64 v[1:2], v[1:2], v[5:6], v[3:4]
	v_div_scale_f64 v[3:4], null, v[1:2], v[1:2], 1.0
	s_delay_alu instid0(VALU_DEP_1) | instskip(SKIP_2) | instid1(VALU_DEP_1)
	v_rcp_f64_e32 v[7:8], v[3:4]
	s_waitcnt_depctr 0xfff
	v_fma_f64 v[11:12], -v[3:4], v[7:8], 1.0
	v_fma_f64 v[7:8], v[7:8], v[11:12], v[7:8]
	s_delay_alu instid0(VALU_DEP_1) | instskip(NEXT) | instid1(VALU_DEP_1)
	v_fma_f64 v[11:12], -v[3:4], v[7:8], 1.0
	v_fma_f64 v[7:8], v[7:8], v[11:12], v[7:8]
	v_div_scale_f64 v[11:12], vcc_lo, 1.0, v[1:2], 1.0
	s_delay_alu instid0(VALU_DEP_1) | instskip(NEXT) | instid1(VALU_DEP_1)
	v_mul_f64 v[13:14], v[11:12], v[7:8]
	v_fma_f64 v[3:4], -v[3:4], v[13:14], v[11:12]
	s_delay_alu instid0(VALU_DEP_1) | instskip(NEXT) | instid1(VALU_DEP_1)
	v_div_fmas_f64 v[3:4], v[3:4], v[7:8], v[13:14]
	v_div_fixup_f64 v[7:8], v[3:4], v[1:2], 1.0
                                        ; implicit-def: $vgpr1_vgpr2
	s_delay_alu instid0(VALU_DEP_1)
	v_mul_f64 v[5:6], v[5:6], v[7:8]
	v_xor_b32_e32 v8, 0x80000000, v8
.LBB31_21:
	s_and_not1_saveexec_b32 s3, s3
	s_cbranch_execz .LBB31_23
; %bb.22:
	v_div_scale_f64 v[5:6], null, v[1:2], v[1:2], v[3:4]
	v_div_scale_f64 v[13:14], vcc_lo, v[3:4], v[1:2], v[3:4]
	s_delay_alu instid0(VALU_DEP_2) | instskip(SKIP_2) | instid1(VALU_DEP_1)
	v_rcp_f64_e32 v[7:8], v[5:6]
	s_waitcnt_depctr 0xfff
	v_fma_f64 v[11:12], -v[5:6], v[7:8], 1.0
	v_fma_f64 v[7:8], v[7:8], v[11:12], v[7:8]
	s_delay_alu instid0(VALU_DEP_1) | instskip(NEXT) | instid1(VALU_DEP_1)
	v_fma_f64 v[11:12], -v[5:6], v[7:8], 1.0
	v_fma_f64 v[7:8], v[7:8], v[11:12], v[7:8]
	s_delay_alu instid0(VALU_DEP_1) | instskip(NEXT) | instid1(VALU_DEP_1)
	v_mul_f64 v[11:12], v[13:14], v[7:8]
	v_fma_f64 v[5:6], -v[5:6], v[11:12], v[13:14]
	s_delay_alu instid0(VALU_DEP_1) | instskip(NEXT) | instid1(VALU_DEP_1)
	v_div_fmas_f64 v[5:6], v[5:6], v[7:8], v[11:12]
	v_div_fixup_f64 v[7:8], v[5:6], v[1:2], v[3:4]
	s_delay_alu instid0(VALU_DEP_1) | instskip(NEXT) | instid1(VALU_DEP_1)
	v_fma_f64 v[1:2], v[3:4], v[7:8], v[1:2]
	v_div_scale_f64 v[3:4], null, v[1:2], v[1:2], 1.0
	s_delay_alu instid0(VALU_DEP_1) | instskip(SKIP_2) | instid1(VALU_DEP_1)
	v_rcp_f64_e32 v[5:6], v[3:4]
	s_waitcnt_depctr 0xfff
	v_fma_f64 v[11:12], -v[3:4], v[5:6], 1.0
	v_fma_f64 v[5:6], v[5:6], v[11:12], v[5:6]
	s_delay_alu instid0(VALU_DEP_1) | instskip(NEXT) | instid1(VALU_DEP_1)
	v_fma_f64 v[11:12], -v[3:4], v[5:6], 1.0
	v_fma_f64 v[5:6], v[5:6], v[11:12], v[5:6]
	v_div_scale_f64 v[11:12], vcc_lo, 1.0, v[1:2], 1.0
	s_delay_alu instid0(VALU_DEP_1) | instskip(NEXT) | instid1(VALU_DEP_1)
	v_mul_f64 v[13:14], v[11:12], v[5:6]
	v_fma_f64 v[3:4], -v[3:4], v[13:14], v[11:12]
	s_delay_alu instid0(VALU_DEP_1) | instskip(NEXT) | instid1(VALU_DEP_1)
	v_div_fmas_f64 v[3:4], v[3:4], v[5:6], v[13:14]
	v_div_fixup_f64 v[5:6], v[3:4], v[1:2], 1.0
	s_delay_alu instid0(VALU_DEP_1)
	v_mul_f64 v[7:8], v[7:8], -v[5:6]
.LBB31_23:
	s_or_b32 exec_lo, exec_lo, s3
.LBB31_24:
	s_delay_alu instid0(SALU_CYCLE_1)
	s_or_b32 exec_lo, exec_lo, s5
	s_branch .LBB31_26
.LBB31_25:
	v_mov_b32_e32 v5, 0
	v_dual_mov_b32 v6, 0x3ff00000 :: v_dual_mov_b32 v7, 0
	v_mov_b32_e32 v8, 0
.LBB31_26:
	ds_store_b128 v10, v[5:8]
.LBB31_27:
	s_or_b32 exec_lo, exec_lo, s4
	s_delay_alu instid0(VALU_DEP_1)
	v_lshlrev_b32_e32 v5, 4, v9
	v_add_lshl_u32 v6, v0, s10, 4
	s_lshl_b32 s11, s10, 4
	s_mov_b32 s3, 16
	s_add_i32 s4, s11, 16
	s_mov_b32 s5, 0
	s_waitcnt lgkmcnt(0)
	s_barrier
	buffer_gl0_inv
	s_branch .LBB31_29
.LBB31_28:                              ;   in Loop: Header=BB31_29 Depth=1
	v_add_nc_u32_e32 v6, s11, v6
	s_add_i32 s3, s3, s4
	s_cmp_eq_u32 s5, s10
	s_barrier
	buffer_gl0_inv
	s_cbranch_scc1 .LBB31_38
.LBB31_29:                              ; =>This Loop Header: Depth=1
                                        ;     Child Loop BB31_34 Depth 2
	v_mov_b32_e32 v1, 0
	v_mov_b32_e32 v2, 0
	s_mul_i32 s7, s5, s10
	s_mov_b32 s6, exec_lo
	v_add_lshl_u32 v7, s7, v0, 4
	s_delay_alu instid0(VALU_DEP_2)
	v_dual_mov_b32 v4, v2 :: v_dual_mov_b32 v3, v1
	v_cmpx_lt_u32_e64 s5, v0
	s_cbranch_execz .LBB31_31
; %bb.30:                               ;   in Loop: Header=BB31_29 Depth=1
	s_add_i32 s7, s7, s5
	s_delay_alu instid0(SALU_CYCLE_1) | instskip(NEXT) | instid1(SALU_CYCLE_1)
	s_lshl_b32 s7, s7, 4
	v_mov_b32_e32 v1, s7
	ds_load_b128 v[1:4], v1
	ds_load_b128 v[8:11], v7
	s_waitcnt lgkmcnt(0)
	v_mul_f64 v[12:13], v[3:4], v[10:11]
	v_mul_f64 v[10:11], v[1:2], v[10:11]
	s_delay_alu instid0(VALU_DEP_2) | instskip(NEXT) | instid1(VALU_DEP_2)
	v_fma_f64 v[1:2], v[1:2], v[8:9], -v[12:13]
	v_fma_f64 v[3:4], v[3:4], v[8:9], v[10:11]
	s_delay_alu instid0(VALU_DEP_2) | instskip(NEXT) | instid1(VALU_DEP_2)
	v_add_f64 v[1:2], v[1:2], 0
	v_add_f64 v[3:4], v[3:4], 0
.LBB31_31:                              ;   in Loop: Header=BB31_29 Depth=1
	s_or_b32 exec_lo, exec_lo, s6
	s_add_i32 s5, s5, 1
	s_delay_alu instid0(SALU_CYCLE_1)
	s_cmp_ge_i32 s5, s10
	s_barrier
	buffer_gl0_inv
	s_cbranch_scc1 .LBB31_28
; %bb.32:                               ;   in Loop: Header=BB31_29 Depth=1
	v_mov_b32_e32 v8, v6
	s_mov_b32 s6, s3
	s_mov_b32 s7, s5
	s_branch .LBB31_34
.LBB31_33:                              ;   in Loop: Header=BB31_34 Depth=2
	s_or_b32 exec_lo, exec_lo, s9
	v_add_nc_u32_e32 v8, s11, v8
	s_add_i32 s7, s7, 1
	s_add_i32 s6, s6, 16
	s_cmp_ge_i32 s7, s10
	s_barrier
	buffer_gl0_inv
	s_cbranch_scc1 .LBB31_28
.LBB31_34:                              ;   Parent Loop BB31_29 Depth=1
                                        ; =>  This Inner Loop Header: Depth=2
	s_mov_b32 s9, exec_lo
	v_cmpx_eq_u32_e64 s7, v0
	s_cbranch_execz .LBB31_36
; %bb.35:                               ;   in Loop: Header=BB31_34 Depth=2
	ds_load_b128 v[9:12], v5
	v_add_f64 v[13:14], -v[1:2], 0
	s_waitcnt lgkmcnt(0)
	v_mul_f64 v[15:16], v[3:4], v[11:12]
	v_mul_f64 v[17:18], v[3:4], v[9:10]
	s_delay_alu instid0(VALU_DEP_2) | instskip(NEXT) | instid1(VALU_DEP_2)
	v_fma_f64 v[9:10], v[13:14], v[9:10], v[15:16]
	v_fma_f64 v[11:12], v[13:14], v[11:12], -v[17:18]
	ds_store_b128 v7, v[9:12]
.LBB31_36:                              ;   in Loop: Header=BB31_34 Depth=2
	s_or_b32 exec_lo, exec_lo, s9
	s_delay_alu instid0(SALU_CYCLE_1)
	s_mov_b32 s9, exec_lo
	s_waitcnt lgkmcnt(0)
	s_barrier
	buffer_gl0_inv
	v_cmpx_lt_u32_e64 s7, v0
	s_cbranch_execz .LBB31_33
; %bb.37:                               ;   in Loop: Header=BB31_34 Depth=2
	v_mov_b32_e32 v13, s6
	ds_load_b128 v[9:12], v8
	ds_load_b128 v[13:16], v13
	s_waitcnt lgkmcnt(0)
	v_mul_f64 v[17:18], v[15:16], v[11:12]
	v_mul_f64 v[11:12], v[13:14], v[11:12]
	s_delay_alu instid0(VALU_DEP_2) | instskip(NEXT) | instid1(VALU_DEP_2)
	v_fma_f64 v[13:14], v[13:14], v[9:10], -v[17:18]
	v_fma_f64 v[9:10], v[15:16], v[9:10], v[11:12]
	s_delay_alu instid0(VALU_DEP_2) | instskip(NEXT) | instid1(VALU_DEP_2)
	v_add_f64 v[1:2], v[1:2], v[13:14]
	v_add_f64 v[3:4], v[3:4], v[9:10]
	s_branch .LBB31_33
.LBB31_38:
	s_and_saveexec_b32 s3, s2
	s_cbranch_execz .LBB31_51
; %bb.39:
	s_clause 0x1
	s_load_b64 s[4:5], s[0:1], 0x58
	s_load_b32 s2, s[0:1], 0x48
	v_lshlrev_b32_e32 v3, 4, v0
	s_waitcnt lgkmcnt(0)
	s_mul_i32 s0, s14, s5
	s_mul_hi_u32 s1, s14, s4
	s_mul_i32 s4, s14, s4
	s_add_i32 s5, s1, s0
	s_cmpk_lg_i32 s8, 0x7a
	s_mov_b32 s0, -1
	s_cbranch_scc0 .LBB31_43
; %bb.40:
	s_add_i32 s0, s10, -1
	s_ashr_i32 s3, s2, 31
	s_mul_hi_u32 s6, s2, s0
	s_mul_i32 s1, s3, s0
	s_mul_i32 s0, s2, s0
	s_add_i32 s1, s6, s1
	s_lshl_b64 s[6:7], s[4:5], 4
	s_lshl_b64 s[0:1], s[0:1], 4
	v_lshlrev_b32_e32 v1, 4, v0
	s_add_u32 s6, s6, s0
	s_addc_u32 s7, s7, s1
	s_lshl_b64 s[0:1], s[20:21], 4
	s_delay_alu instid0(SALU_CYCLE_1)
	s_add_u32 s0, s6, s0
	s_addc_u32 s1, s7, s1
	v_sub_nc_u32_e32 v4, s11, v1
	s_add_u32 s0, s12, s0
	s_addc_u32 s1, s13, s1
	v_add_co_u32 v1, s0, s0, v1
	s_lshl_b64 s[6:7], s[2:3], 4
	v_add_co_ci_u32_e64 v2, null, s1, 0, s0
	v_add_nc_u32_e32 v4, -16, v4
	s_sub_u32 s1, 0, s6
	s_subb_u32 s6, 0, s7
	s_mov_b32 s3, 0
	s_mov_b32 s7, s10
.LBB31_41:                              ; =>This Inner Loop Header: Depth=1
	ds_load_2addr_b64 v[5:8], v4 offset1:1
	s_add_i32 s7, s7, -1
	v_add_nc_u32_e32 v4, s11, v4
	v_cmp_le_i32_e32 vcc_lo, s7, v0
	s_or_b32 s3, vcc_lo, s3
	s_waitcnt lgkmcnt(0)
	global_store_b128 v[1:2], v[5:8], off
	v_add_co_u32 v1, s0, v1, s1
	s_delay_alu instid0(VALU_DEP_1)
	v_add_co_ci_u32_e64 v2, s0, s6, v2, s0
	s_and_not1_b32 exec_lo, exec_lo, s3
	s_cbranch_execnz .LBB31_41
; %bb.42:
	s_or_b32 exec_lo, exec_lo, s3
	s_mov_b32 s0, 0
.LBB31_43:
	s_delay_alu instid0(SALU_CYCLE_1)
	s_and_b32 vcc_lo, exec_lo, s0
	s_cbranch_vccz .LBB31_51
; %bb.44:
	v_dual_mov_b32 v4, 0 :: v_dual_add_nc_u32 v5, 1, v0
	s_ashr_i32 s3, s2, 31
	s_mov_b32 s1, exec_lo
	v_cmpx_lt_u32_e32 2, v0
	s_cbranch_execz .LBB31_48
; %bb.45:
	s_lshl_b64 s[6:7], s[20:21], 4
	v_and_b32_e32 v4, 0x7fc, v5
	s_add_u32 s0, s12, s6
	s_addc_u32 s8, s13, s7
	s_lshl_b64 s[6:7], s[4:5], 4
	v_mov_b32_e32 v6, v3
	s_add_u32 s0, s0, s6
	s_addc_u32 s6, s8, s7
	v_add_co_u32 v1, s0, s0, v3
	s_delay_alu instid0(VALU_DEP_1)
	v_add_co_ci_u32_e64 v2, null, s6, 0, s0
	s_mul_hi_i32 s16, s2, 48
	s_mul_i32 s17, s2, 48
	s_lshl_b64 s[6:7], s[2:3], 6
	s_lshl_b64 s[8:9], s[2:3], 5
	;; [unrolled: 1-line block ×3, first 2 shown]
	s_lshl_b32 s18, s10, 6
	s_lshl_b32 s19, s10, 5
	s_mul_i32 s23, s10, 48
	s_mov_b32 s22, 0
	s_mov_b32 s24, 0
	s_set_inst_prefetch_distance 0x1
	.p2align	6
.LBB31_46:                              ; =>This Inner Loop Header: Depth=1
	ds_load_2addr_b64 v[7:10], v6 offset1:1
	v_add_nc_u32_e32 v11, s11, v6
	v_add_nc_u32_e32 v15, s19, v6
	;; [unrolled: 1-line block ×3, first 2 shown]
	v_add_co_u32 v23, vcc_lo, v1, s14
	ds_load_2addr_b64 v[11:14], v11 offset1:1
	ds_load_2addr_b64 v[15:18], v15 offset1:1
	;; [unrolled: 1-line block ×3, first 2 shown]
	v_add_co_ci_u32_e32 v24, vcc_lo, s15, v2, vcc_lo
	v_add_co_u32 v25, vcc_lo, v1, s8
	v_add_co_ci_u32_e32 v26, vcc_lo, s9, v2, vcc_lo
	v_add_co_u32 v27, vcc_lo, v1, s17
	s_add_i32 s24, s24, 4
	v_add_co_ci_u32_e32 v28, vcc_lo, s16, v2, vcc_lo
	v_cmp_eq_u32_e32 vcc_lo, s24, v4
	v_add_nc_u32_e32 v6, s18, v6
	s_waitcnt lgkmcnt(3)
	global_store_b128 v[1:2], v[7:10], off
	v_add_co_u32 v1, s0, v1, s6
	s_delay_alu instid0(VALU_DEP_1)
	v_add_co_ci_u32_e64 v2, s0, s7, v2, s0
	s_or_b32 s22, vcc_lo, s22
	s_waitcnt lgkmcnt(2)
	global_store_b128 v[23:24], v[11:14], off
	s_waitcnt lgkmcnt(1)
	global_store_b128 v[25:26], v[15:18], off
	;; [unrolled: 2-line block ×3, first 2 shown]
	s_and_not1_b32 exec_lo, exec_lo, s22
	s_cbranch_execnz .LBB31_46
; %bb.47:
	s_set_inst_prefetch_distance 0x2
	s_or_b32 exec_lo, exec_lo, s22
.LBB31_48:
	s_delay_alu instid0(SALU_CYCLE_1) | instskip(SKIP_2) | instid1(VALU_DEP_1)
	s_or_b32 exec_lo, exec_lo, s1
	v_and_b32_e32 v5, 3, v5
	s_mov_b32 s1, 0
	v_cmp_ne_u32_e32 vcc_lo, 0, v5
	s_and_b32 exec_lo, exec_lo, vcc_lo
	s_cbranch_execz .LBB31_51
; %bb.49:
	v_mad_i64_i32 v[1:2], null, s2, v4, 0
	s_lshl_b64 s[4:5], s[4:5], 4
	s_lshl_b64 s[6:7], s[20:21], 4
	v_mul_lo_u32 v4, v4, s10
	s_add_u32 s0, s6, s4
	s_addc_u32 s4, s7, s5
	s_lshl_b64 s[2:3], s[2:3], 4
	s_delay_alu instid0(VALU_DEP_2) | instskip(NEXT) | instid1(VALU_DEP_2)
	v_lshlrev_b64 v[1:2], 4, v[1:2]
	v_add_lshl_u32 v0, v0, v4, 4
	s_delay_alu instid0(VALU_DEP_2) | instskip(NEXT) | instid1(VALU_DEP_3)
	v_add_co_u32 v1, vcc_lo, s0, v1
	v_add_co_ci_u32_e32 v2, vcc_lo, s4, v2, vcc_lo
	s_delay_alu instid0(VALU_DEP_2) | instskip(NEXT) | instid1(VALU_DEP_2)
	v_add_co_u32 v1, vcc_lo, v1, v3
	v_add_co_ci_u32_e32 v2, vcc_lo, 0, v2, vcc_lo
	s_delay_alu instid0(VALU_DEP_2) | instskip(NEXT) | instid1(VALU_DEP_2)
	v_add_co_u32 v1, vcc_lo, s12, v1
	v_add_co_ci_u32_e32 v2, vcc_lo, s13, v2, vcc_lo
.LBB31_50:                              ; =>This Inner Loop Header: Depth=1
	ds_load_2addr_b64 v[6:9], v0 offset1:1
	v_add_nc_u32_e32 v5, -1, v5
	v_add_nc_u32_e32 v0, s11, v0
	s_delay_alu instid0(VALU_DEP_2) | instskip(SKIP_4) | instid1(VALU_DEP_1)
	v_cmp_eq_u32_e32 vcc_lo, 0, v5
	s_or_b32 s1, vcc_lo, s1
	s_waitcnt lgkmcnt(0)
	global_store_b128 v[1:2], v[6:9], off
	v_add_co_u32 v1, s0, v1, s2
	v_add_co_ci_u32_e64 v2, s0, s3, v2, s0
	s_and_not1_b32 exec_lo, exec_lo, s1
	s_cbranch_execnz .LBB31_50
.LBB31_51:
	s_nop 0
	s_sendmsg sendmsg(MSG_DEALLOC_VGPRS)
	s_endpgm
	.section	.rodata,"a",@progbits
	.p2align	6, 0x0
	.amdhsa_kernel _ZL30rocblas_trtri_remainder_kernelILi16E19rocblas_complex_numIdEPKPKS1_PKPS1_Ev13rocblas_fill_17rocblas_diagonal_iT1_lillT2_lilli
		.amdhsa_group_segment_fixed_size 16384
		.amdhsa_private_segment_fixed_size 0
		.amdhsa_kernarg_size 100
		.amdhsa_user_sgpr_count 14
		.amdhsa_user_sgpr_dispatch_ptr 0
		.amdhsa_user_sgpr_queue_ptr 0
		.amdhsa_user_sgpr_kernarg_segment_ptr 1
		.amdhsa_user_sgpr_dispatch_id 0
		.amdhsa_user_sgpr_private_segment_size 0
		.amdhsa_wavefront_size32 1
		.amdhsa_uses_dynamic_stack 0
		.amdhsa_enable_private_segment 0
		.amdhsa_system_sgpr_workgroup_id_x 1
		.amdhsa_system_sgpr_workgroup_id_y 0
		.amdhsa_system_sgpr_workgroup_id_z 1
		.amdhsa_system_sgpr_workgroup_info 0
		.amdhsa_system_vgpr_workitem_id 0
		.amdhsa_next_free_vgpr 29
		.amdhsa_next_free_sgpr 38
		.amdhsa_reserve_vcc 1
		.amdhsa_float_round_mode_32 0
		.amdhsa_float_round_mode_16_64 0
		.amdhsa_float_denorm_mode_32 3
		.amdhsa_float_denorm_mode_16_64 3
		.amdhsa_dx10_clamp 1
		.amdhsa_ieee_mode 1
		.amdhsa_fp16_overflow 0
		.amdhsa_workgroup_processor_mode 1
		.amdhsa_memory_ordered 1
		.amdhsa_forward_progress 0
		.amdhsa_shared_vgpr_count 0
		.amdhsa_exception_fp_ieee_invalid_op 0
		.amdhsa_exception_fp_denorm_src 0
		.amdhsa_exception_fp_ieee_div_zero 0
		.amdhsa_exception_fp_ieee_overflow 0
		.amdhsa_exception_fp_ieee_underflow 0
		.amdhsa_exception_fp_ieee_inexact 0
		.amdhsa_exception_int_div_zero 0
	.end_amdhsa_kernel
	.section	.text._ZL30rocblas_trtri_remainder_kernelILi16E19rocblas_complex_numIdEPKPKS1_PKPS1_Ev13rocblas_fill_17rocblas_diagonal_iT1_lillT2_lilli,"axG",@progbits,_ZL30rocblas_trtri_remainder_kernelILi16E19rocblas_complex_numIdEPKPKS1_PKPS1_Ev13rocblas_fill_17rocblas_diagonal_iT1_lillT2_lilli,comdat
.Lfunc_end31:
	.size	_ZL30rocblas_trtri_remainder_kernelILi16E19rocblas_complex_numIdEPKPKS1_PKPS1_Ev13rocblas_fill_17rocblas_diagonal_iT1_lillT2_lilli, .Lfunc_end31-_ZL30rocblas_trtri_remainder_kernelILi16E19rocblas_complex_numIdEPKPKS1_PKPS1_Ev13rocblas_fill_17rocblas_diagonal_iT1_lillT2_lilli
                                        ; -- End function
	.section	.AMDGPU.csdata,"",@progbits
; Kernel info:
; codeLenInByte = 2928
; NumSgprs: 40
; NumVgprs: 29
; ScratchSize: 0
; MemoryBound: 0
; FloatMode: 240
; IeeeMode: 1
; LDSByteSize: 16384 bytes/workgroup (compile time only)
; SGPRBlocks: 4
; VGPRBlocks: 3
; NumSGPRsForWavesPerEU: 40
; NumVGPRsForWavesPerEU: 29
; Occupancy: 16
; WaveLimiterHint : 0
; COMPUTE_PGM_RSRC2:SCRATCH_EN: 0
; COMPUTE_PGM_RSRC2:USER_SGPR: 14
; COMPUTE_PGM_RSRC2:TRAP_HANDLER: 0
; COMPUTE_PGM_RSRC2:TGID_X_EN: 1
; COMPUTE_PGM_RSRC2:TGID_Y_EN: 0
; COMPUTE_PGM_RSRC2:TGID_Z_EN: 1
; COMPUTE_PGM_RSRC2:TIDIG_COMP_CNT: 0
	.text
	.p2alignl 7, 3214868480
	.fill 96, 4, 3214868480
	.type	__hip_cuid_c437cdecb32b4d05,@object ; @__hip_cuid_c437cdecb32b4d05
	.section	.bss,"aw",@nobits
	.globl	__hip_cuid_c437cdecb32b4d05
__hip_cuid_c437cdecb32b4d05:
	.byte	0                               ; 0x0
	.size	__hip_cuid_c437cdecb32b4d05, 1

	.ident	"AMD clang version 19.0.0git (https://github.com/RadeonOpenCompute/llvm-project roc-6.4.0 25133 c7fe45cf4b819c5991fe208aaa96edf142730f1d)"
	.section	".note.GNU-stack","",@progbits
	.addrsig
	.addrsig_sym __hip_cuid_c437cdecb32b4d05
	.amdgpu_metadata
---
amdhsa.kernels:
  - .args:
      - .address_space:  global
        .offset:         0
        .size:           8
        .value_kind:     global_buffer
      - .offset:         8
        .size:           4
        .value_kind:     by_value
      - .offset:         12
        .size:           4
        .value_kind:     by_value
      - .offset:         16
        .size:           8
        .value_kind:     by_value
      - .offset:         24
        .size:           4
        .value_kind:     by_value
      - .offset:         32
        .size:           8
        .value_kind:     by_value
      - .address_space:  global
        .offset:         40
        .size:           8
        .value_kind:     global_buffer
      - .offset:         48
        .size:           8
        .value_kind:     by_value
      - .offset:         56
        .size:           8
        .value_kind:     by_value
      - .offset:         64
        .size:           4
        .value_kind:     by_value
      - .offset:         68
        .size:           4
        .value_kind:     by_value
      - .offset:         72
        .size:           4
        .value_kind:     hidden_block_count_x
      - .offset:         76
        .size:           4
        .value_kind:     hidden_block_count_y
      - .offset:         80
        .size:           4
        .value_kind:     hidden_block_count_z
      - .offset:         84
        .size:           2
        .value_kind:     hidden_group_size_x
      - .offset:         86
        .size:           2
        .value_kind:     hidden_group_size_y
      - .offset:         88
        .size:           2
        .value_kind:     hidden_group_size_z
      - .offset:         90
        .size:           2
        .value_kind:     hidden_remainder_x
      - .offset:         92
        .size:           2
        .value_kind:     hidden_remainder_y
      - .offset:         94
        .size:           2
        .value_kind:     hidden_remainder_z
      - .offset:         112
        .size:           8
        .value_kind:     hidden_global_offset_x
      - .offset:         120
        .size:           8
        .value_kind:     hidden_global_offset_y
      - .offset:         128
        .size:           8
        .value_kind:     hidden_global_offset_z
      - .offset:         136
        .size:           2
        .value_kind:     hidden_grid_dims
    .group_segment_fixed_size: 0
    .kernarg_segment_align: 8
    .kernarg_segment_size: 328
    .language:       OpenCL C
    .language_version:
      - 2
      - 0
    .max_flat_workgroup_size: 128
    .name:           _ZL18rocblas_trtri_fillILi128EfPfEvP15_rocblas_handle13rocblas_fill_ililT1_llii
    .private_segment_fixed_size: 0
    .sgpr_count:     25
    .sgpr_spill_count: 0
    .symbol:         _ZL18rocblas_trtri_fillILi128EfPfEvP15_rocblas_handle13rocblas_fill_ililT1_llii.kd
    .uniform_work_group_size: 1
    .uses_dynamic_stack: false
    .vgpr_count:     26
    .vgpr_spill_count: 0
    .wavefront_size: 32
    .workgroup_processor_mode: 1
  - .args:
      - .offset:         0
        .size:           4
        .value_kind:     by_value
      - .offset:         4
        .size:           4
        .value_kind:     by_value
      - .offset:         8
        .size:           4
        .value_kind:     by_value
      - .address_space:  global
        .offset:         16
        .size:           8
        .value_kind:     global_buffer
      - .offset:         24
        .size:           8
        .value_kind:     by_value
      - .offset:         32
        .size:           4
        .value_kind:     by_value
      - .offset:         40
        .size:           8
        .value_kind:     by_value
      - .offset:         48
        .size:           8
        .value_kind:     by_value
      - .address_space:  global
        .offset:         56
        .size:           8
        .value_kind:     global_buffer
      - .offset:         64
        .size:           8
        .value_kind:     by_value
      - .offset:         72
        .size:           4
        .value_kind:     by_value
      - .offset:         80
        .size:           8
        .value_kind:     by_value
      - .offset:         88
        .size:           8
        .value_kind:     by_value
      - .offset:         96
        .size:           4
        .value_kind:     by_value
    .group_segment_fixed_size: 1024
    .kernarg_segment_align: 8
    .kernarg_segment_size: 100
    .language:       OpenCL C
    .language_version:
      - 2
      - 0
    .max_flat_workgroup_size: 16
    .name:           _ZL26rocblas_trtri_small_kernelILi16EfPKfPfEv13rocblas_fill_17rocblas_diagonal_iT1_lillT2_lilli
    .private_segment_fixed_size: 0
    .sgpr_count:     43
    .sgpr_spill_count: 0
    .symbol:         _ZL26rocblas_trtri_small_kernelILi16EfPKfPfEv13rocblas_fill_17rocblas_diagonal_iT1_lillT2_lilli.kd
    .uniform_work_group_size: 1
    .uses_dynamic_stack: false
    .vgpr_count:     17
    .vgpr_spill_count: 0
    .wavefront_size: 32
    .workgroup_processor_mode: 1
  - .args:
      - .offset:         0
        .size:           4
        .value_kind:     by_value
      - .offset:         4
        .size:           4
        .value_kind:     by_value
      - .offset:         8
        .size:           4
        .value_kind:     by_value
      - .address_space:  global
        .offset:         16
        .size:           8
        .value_kind:     global_buffer
      - .offset:         24
        .size:           8
        .value_kind:     by_value
      - .offset:         32
        .size:           4
        .value_kind:     by_value
      - .offset:         40
        .size:           8
        .value_kind:     by_value
      - .offset:         48
        .size:           8
        .value_kind:     by_value
      - .address_space:  global
        .offset:         56
        .size:           8
        .value_kind:     global_buffer
      - .offset:         64
        .size:           8
        .value_kind:     by_value
      - .offset:         72
        .size:           4
        .value_kind:     by_value
      - .offset:         80
        .size:           8
        .value_kind:     by_value
      - .offset:         88
        .size:           8
        .value_kind:     by_value
      - .offset:         96
        .size:           4
        .value_kind:     by_value
    .group_segment_fixed_size: 4096
    .kernarg_segment_align: 8
    .kernarg_segment_size: 100
    .language:       OpenCL C
    .language_version:
      - 2
      - 0
    .max_flat_workgroup_size: 256
    .name:           _ZL29rocblas_trtri_diagonal_kernelILi16EfPKfPfEv13rocblas_fill_17rocblas_diagonal_iT1_lillT2_lilli
    .private_segment_fixed_size: 0
    .sgpr_count:     42
    .sgpr_spill_count: 0
    .symbol:         _ZL29rocblas_trtri_diagonal_kernelILi16EfPKfPfEv13rocblas_fill_17rocblas_diagonal_iT1_lillT2_lilli.kd
    .uniform_work_group_size: 1
    .uses_dynamic_stack: false
    .vgpr_count:     33
    .vgpr_spill_count: 0
    .wavefront_size: 32
    .workgroup_processor_mode: 1
  - .args:
      - .offset:         0
        .size:           4
        .value_kind:     by_value
      - .offset:         4
        .size:           4
        .value_kind:     by_value
      - .offset:         8
        .size:           4
        .value_kind:     by_value
      - .address_space:  global
        .offset:         16
        .size:           8
        .value_kind:     global_buffer
      - .offset:         24
        .size:           8
        .value_kind:     by_value
      - .offset:         32
        .size:           4
        .value_kind:     by_value
      - .offset:         40
        .size:           8
        .value_kind:     by_value
      - .offset:         48
        .size:           8
        .value_kind:     by_value
      - .address_space:  global
        .offset:         56
        .size:           8
        .value_kind:     global_buffer
      - .offset:         64
        .size:           8
        .value_kind:     by_value
      - .offset:         72
        .size:           4
        .value_kind:     by_value
      - .offset:         80
        .size:           8
        .value_kind:     by_value
      - .offset:         88
        .size:           8
        .value_kind:     by_value
      - .offset:         96
        .size:           4
        .value_kind:     by_value
    .group_segment_fixed_size: 4096
    .kernarg_segment_align: 8
    .kernarg_segment_size: 100
    .language:       OpenCL C
    .language_version:
      - 2
      - 0
    .max_flat_workgroup_size: 1024
    .name:           _ZL30rocblas_trtri_remainder_kernelILi16EfPKfPfEv13rocblas_fill_17rocblas_diagonal_iT1_lillT2_lilli
    .private_segment_fixed_size: 0
    .sgpr_count:     43
    .sgpr_spill_count: 0
    .symbol:         _ZL30rocblas_trtri_remainder_kernelILi16EfPKfPfEv13rocblas_fill_17rocblas_diagonal_iT1_lillT2_lilli.kd
    .uniform_work_group_size: 1
    .uses_dynamic_stack: false
    .vgpr_count:     17
    .vgpr_spill_count: 0
    .wavefront_size: 32
    .workgroup_processor_mode: 1
  - .args:
      - .address_space:  global
        .offset:         0
        .size:           8
        .value_kind:     global_buffer
      - .offset:         8
        .size:           4
        .value_kind:     by_value
      - .offset:         12
        .size:           4
        .value_kind:     by_value
      - .offset:         16
        .size:           8
        .value_kind:     by_value
      - .offset:         24
        .size:           4
        .value_kind:     by_value
      - .offset:         32
        .size:           8
        .value_kind:     by_value
      - .address_space:  global
        .offset:         40
        .size:           8
        .value_kind:     global_buffer
      - .offset:         48
        .size:           8
        .value_kind:     by_value
      - .offset:         56
        .size:           8
        .value_kind:     by_value
      - .offset:         64
        .size:           4
        .value_kind:     by_value
      - .offset:         68
        .size:           4
        .value_kind:     by_value
      - .offset:         72
        .size:           4
        .value_kind:     hidden_block_count_x
      - .offset:         76
        .size:           4
        .value_kind:     hidden_block_count_y
      - .offset:         80
        .size:           4
        .value_kind:     hidden_block_count_z
      - .offset:         84
        .size:           2
        .value_kind:     hidden_group_size_x
      - .offset:         86
        .size:           2
        .value_kind:     hidden_group_size_y
      - .offset:         88
        .size:           2
        .value_kind:     hidden_group_size_z
      - .offset:         90
        .size:           2
        .value_kind:     hidden_remainder_x
      - .offset:         92
        .size:           2
        .value_kind:     hidden_remainder_y
      - .offset:         94
        .size:           2
        .value_kind:     hidden_remainder_z
      - .offset:         112
        .size:           8
        .value_kind:     hidden_global_offset_x
      - .offset:         120
        .size:           8
        .value_kind:     hidden_global_offset_y
      - .offset:         128
        .size:           8
        .value_kind:     hidden_global_offset_z
      - .offset:         136
        .size:           2
        .value_kind:     hidden_grid_dims
    .group_segment_fixed_size: 0
    .kernarg_segment_align: 8
    .kernarg_segment_size: 328
    .language:       OpenCL C
    .language_version:
      - 2
      - 0
    .max_flat_workgroup_size: 128
    .name:           _ZL18rocblas_trtri_fillILi128EdPdEvP15_rocblas_handle13rocblas_fill_ililT1_llii
    .private_segment_fixed_size: 0
    .sgpr_count:     25
    .sgpr_spill_count: 0
    .symbol:         _ZL18rocblas_trtri_fillILi128EdPdEvP15_rocblas_handle13rocblas_fill_ililT1_llii.kd
    .uniform_work_group_size: 1
    .uses_dynamic_stack: false
    .vgpr_count:     26
    .vgpr_spill_count: 0
    .wavefront_size: 32
    .workgroup_processor_mode: 1
  - .args:
      - .offset:         0
        .size:           4
        .value_kind:     by_value
      - .offset:         4
        .size:           4
        .value_kind:     by_value
      - .offset:         8
        .size:           4
        .value_kind:     by_value
      - .address_space:  global
        .offset:         16
        .size:           8
        .value_kind:     global_buffer
      - .offset:         24
        .size:           8
        .value_kind:     by_value
      - .offset:         32
        .size:           4
        .value_kind:     by_value
      - .offset:         40
        .size:           8
        .value_kind:     by_value
      - .offset:         48
        .size:           8
        .value_kind:     by_value
      - .address_space:  global
        .offset:         56
        .size:           8
        .value_kind:     global_buffer
      - .offset:         64
        .size:           8
        .value_kind:     by_value
      - .offset:         72
        .size:           4
        .value_kind:     by_value
      - .offset:         80
        .size:           8
        .value_kind:     by_value
      - .offset:         88
        .size:           8
        .value_kind:     by_value
      - .offset:         96
        .size:           4
        .value_kind:     by_value
    .group_segment_fixed_size: 2048
    .kernarg_segment_align: 8
    .kernarg_segment_size: 100
    .language:       OpenCL C
    .language_version:
      - 2
      - 0
    .max_flat_workgroup_size: 16
    .name:           _ZL26rocblas_trtri_small_kernelILi16EdPKdPdEv13rocblas_fill_17rocblas_diagonal_iT1_lillT2_lilli
    .private_segment_fixed_size: 0
    .sgpr_count:     43
    .sgpr_spill_count: 0
    .symbol:         _ZL26rocblas_trtri_small_kernelILi16EdPKdPdEv13rocblas_fill_17rocblas_diagonal_iT1_lillT2_lilli.kd
    .uniform_work_group_size: 1
    .uses_dynamic_stack: false
    .vgpr_count:     21
    .vgpr_spill_count: 0
    .wavefront_size: 32
    .workgroup_processor_mode: 1
  - .args:
      - .offset:         0
        .size:           4
        .value_kind:     by_value
      - .offset:         4
        .size:           4
        .value_kind:     by_value
      - .offset:         8
        .size:           4
        .value_kind:     by_value
      - .address_space:  global
        .offset:         16
        .size:           8
        .value_kind:     global_buffer
      - .offset:         24
        .size:           8
        .value_kind:     by_value
      - .offset:         32
        .size:           4
        .value_kind:     by_value
      - .offset:         40
        .size:           8
        .value_kind:     by_value
      - .offset:         48
        .size:           8
        .value_kind:     by_value
      - .address_space:  global
        .offset:         56
        .size:           8
        .value_kind:     global_buffer
      - .offset:         64
        .size:           8
        .value_kind:     by_value
      - .offset:         72
        .size:           4
        .value_kind:     by_value
      - .offset:         80
        .size:           8
        .value_kind:     by_value
      - .offset:         88
        .size:           8
        .value_kind:     by_value
      - .offset:         96
        .size:           4
        .value_kind:     by_value
    .group_segment_fixed_size: 8192
    .kernarg_segment_align: 8
    .kernarg_segment_size: 100
    .language:       OpenCL C
    .language_version:
      - 2
      - 0
    .max_flat_workgroup_size: 256
    .name:           _ZL29rocblas_trtri_diagonal_kernelILi16EdPKdPdEv13rocblas_fill_17rocblas_diagonal_iT1_lillT2_lilli
    .private_segment_fixed_size: 0
    .sgpr_count:     42
    .sgpr_spill_count: 0
    .symbol:         _ZL29rocblas_trtri_diagonal_kernelILi16EdPKdPdEv13rocblas_fill_17rocblas_diagonal_iT1_lillT2_lilli.kd
    .uniform_work_group_size: 1
    .uses_dynamic_stack: false
    .vgpr_count:     34
    .vgpr_spill_count: 0
    .wavefront_size: 32
    .workgroup_processor_mode: 1
  - .args:
      - .offset:         0
        .size:           4
        .value_kind:     by_value
      - .offset:         4
        .size:           4
        .value_kind:     by_value
      - .offset:         8
        .size:           4
        .value_kind:     by_value
      - .address_space:  global
        .offset:         16
        .size:           8
        .value_kind:     global_buffer
      - .offset:         24
        .size:           8
        .value_kind:     by_value
      - .offset:         32
        .size:           4
        .value_kind:     by_value
      - .offset:         40
        .size:           8
        .value_kind:     by_value
      - .offset:         48
        .size:           8
        .value_kind:     by_value
      - .address_space:  global
        .offset:         56
        .size:           8
        .value_kind:     global_buffer
      - .offset:         64
        .size:           8
        .value_kind:     by_value
      - .offset:         72
        .size:           4
        .value_kind:     by_value
      - .offset:         80
        .size:           8
        .value_kind:     by_value
      - .offset:         88
        .size:           8
        .value_kind:     by_value
      - .offset:         96
        .size:           4
        .value_kind:     by_value
    .group_segment_fixed_size: 8192
    .kernarg_segment_align: 8
    .kernarg_segment_size: 100
    .language:       OpenCL C
    .language_version:
      - 2
      - 0
    .max_flat_workgroup_size: 1024
    .name:           _ZL30rocblas_trtri_remainder_kernelILi16EdPKdPdEv13rocblas_fill_17rocblas_diagonal_iT1_lillT2_lilli
    .private_segment_fixed_size: 0
    .sgpr_count:     43
    .sgpr_spill_count: 0
    .symbol:         _ZL30rocblas_trtri_remainder_kernelILi16EdPKdPdEv13rocblas_fill_17rocblas_diagonal_iT1_lillT2_lilli.kd
    .uniform_work_group_size: 1
    .uses_dynamic_stack: false
    .vgpr_count:     21
    .vgpr_spill_count: 0
    .wavefront_size: 32
    .workgroup_processor_mode: 1
  - .args:
      - .address_space:  global
        .offset:         0
        .size:           8
        .value_kind:     global_buffer
      - .offset:         8
        .size:           4
        .value_kind:     by_value
      - .offset:         12
        .size:           4
        .value_kind:     by_value
      - .offset:         16
        .size:           8
        .value_kind:     by_value
      - .offset:         24
        .size:           4
        .value_kind:     by_value
      - .offset:         32
        .size:           8
        .value_kind:     by_value
      - .address_space:  global
        .offset:         40
        .size:           8
        .value_kind:     global_buffer
      - .offset:         48
        .size:           8
        .value_kind:     by_value
      - .offset:         56
        .size:           8
        .value_kind:     by_value
      - .offset:         64
        .size:           4
        .value_kind:     by_value
      - .offset:         68
        .size:           4
        .value_kind:     by_value
      - .offset:         72
        .size:           4
        .value_kind:     hidden_block_count_x
      - .offset:         76
        .size:           4
        .value_kind:     hidden_block_count_y
      - .offset:         80
        .size:           4
        .value_kind:     hidden_block_count_z
      - .offset:         84
        .size:           2
        .value_kind:     hidden_group_size_x
      - .offset:         86
        .size:           2
        .value_kind:     hidden_group_size_y
      - .offset:         88
        .size:           2
        .value_kind:     hidden_group_size_z
      - .offset:         90
        .size:           2
        .value_kind:     hidden_remainder_x
      - .offset:         92
        .size:           2
        .value_kind:     hidden_remainder_y
      - .offset:         94
        .size:           2
        .value_kind:     hidden_remainder_z
      - .offset:         112
        .size:           8
        .value_kind:     hidden_global_offset_x
      - .offset:         120
        .size:           8
        .value_kind:     hidden_global_offset_y
      - .offset:         128
        .size:           8
        .value_kind:     hidden_global_offset_z
      - .offset:         136
        .size:           2
        .value_kind:     hidden_grid_dims
    .group_segment_fixed_size: 0
    .kernarg_segment_align: 8
    .kernarg_segment_size: 328
    .language:       OpenCL C
    .language_version:
      - 2
      - 0
    .max_flat_workgroup_size: 128
    .name:           _ZL18rocblas_trtri_fillILi128E19rocblas_complex_numIfEPS1_EvP15_rocblas_handle13rocblas_fill_ililT1_llii
    .private_segment_fixed_size: 0
    .sgpr_count:     25
    .sgpr_spill_count: 0
    .symbol:         _ZL18rocblas_trtri_fillILi128E19rocblas_complex_numIfEPS1_EvP15_rocblas_handle13rocblas_fill_ililT1_llii.kd
    .uniform_work_group_size: 1
    .uses_dynamic_stack: false
    .vgpr_count:     26
    .vgpr_spill_count: 0
    .wavefront_size: 32
    .workgroup_processor_mode: 1
  - .args:
      - .offset:         0
        .size:           4
        .value_kind:     by_value
      - .offset:         4
        .size:           4
        .value_kind:     by_value
      - .offset:         8
        .size:           4
        .value_kind:     by_value
      - .address_space:  global
        .offset:         16
        .size:           8
        .value_kind:     global_buffer
      - .offset:         24
        .size:           8
        .value_kind:     by_value
      - .offset:         32
        .size:           4
        .value_kind:     by_value
      - .offset:         40
        .size:           8
        .value_kind:     by_value
      - .offset:         48
        .size:           8
        .value_kind:     by_value
      - .address_space:  global
        .offset:         56
        .size:           8
        .value_kind:     global_buffer
      - .offset:         64
        .size:           8
        .value_kind:     by_value
      - .offset:         72
        .size:           4
        .value_kind:     by_value
      - .offset:         80
        .size:           8
        .value_kind:     by_value
      - .offset:         88
        .size:           8
        .value_kind:     by_value
      - .offset:         96
        .size:           4
        .value_kind:     by_value
    .group_segment_fixed_size: 2048
    .kernarg_segment_align: 8
    .kernarg_segment_size: 100
    .language:       OpenCL C
    .language_version:
      - 2
      - 0
    .max_flat_workgroup_size: 16
    .name:           _ZL26rocblas_trtri_small_kernelILi16E19rocblas_complex_numIfEPKS1_PS1_Ev13rocblas_fill_17rocblas_diagonal_iT1_lillT2_lilli
    .private_segment_fixed_size: 0
    .sgpr_count:     43
    .sgpr_spill_count: 0
    .symbol:         _ZL26rocblas_trtri_small_kernelILi16E19rocblas_complex_numIfEPKS1_PS1_Ev13rocblas_fill_17rocblas_diagonal_iT1_lillT2_lilli.kd
    .uniform_work_group_size: 1
    .uses_dynamic_stack: false
    .vgpr_count:     21
    .vgpr_spill_count: 0
    .wavefront_size: 32
    .workgroup_processor_mode: 1
  - .args:
      - .offset:         0
        .size:           4
        .value_kind:     by_value
      - .offset:         4
        .size:           4
        .value_kind:     by_value
      - .offset:         8
        .size:           4
        .value_kind:     by_value
      - .address_space:  global
        .offset:         16
        .size:           8
        .value_kind:     global_buffer
      - .offset:         24
        .size:           8
        .value_kind:     by_value
      - .offset:         32
        .size:           4
        .value_kind:     by_value
      - .offset:         40
        .size:           8
        .value_kind:     by_value
      - .offset:         48
        .size:           8
        .value_kind:     by_value
      - .address_space:  global
        .offset:         56
        .size:           8
        .value_kind:     global_buffer
      - .offset:         64
        .size:           8
        .value_kind:     by_value
      - .offset:         72
        .size:           4
        .value_kind:     by_value
      - .offset:         80
        .size:           8
        .value_kind:     by_value
      - .offset:         88
        .size:           8
        .value_kind:     by_value
      - .offset:         96
        .size:           4
        .value_kind:     by_value
    .group_segment_fixed_size: 8192
    .kernarg_segment_align: 8
    .kernarg_segment_size: 100
    .language:       OpenCL C
    .language_version:
      - 2
      - 0
    .max_flat_workgroup_size: 256
    .name:           _ZL29rocblas_trtri_diagonal_kernelILi16E19rocblas_complex_numIfEPKS1_PS1_Ev13rocblas_fill_17rocblas_diagonal_iT1_lillT2_lilli
    .private_segment_fixed_size: 0
    .sgpr_count:     42
    .sgpr_spill_count: 0
    .symbol:         _ZL29rocblas_trtri_diagonal_kernelILi16E19rocblas_complex_numIfEPKS1_PS1_Ev13rocblas_fill_17rocblas_diagonal_iT1_lillT2_lilli.kd
    .uniform_work_group_size: 1
    .uses_dynamic_stack: false
    .vgpr_count:     55
    .vgpr_spill_count: 0
    .wavefront_size: 32
    .workgroup_processor_mode: 1
  - .args:
      - .offset:         0
        .size:           4
        .value_kind:     by_value
      - .offset:         4
        .size:           4
        .value_kind:     by_value
      - .offset:         8
        .size:           4
        .value_kind:     by_value
      - .address_space:  global
        .offset:         16
        .size:           8
        .value_kind:     global_buffer
      - .offset:         24
        .size:           8
        .value_kind:     by_value
      - .offset:         32
        .size:           4
        .value_kind:     by_value
      - .offset:         40
        .size:           8
        .value_kind:     by_value
      - .offset:         48
        .size:           8
        .value_kind:     by_value
      - .address_space:  global
        .offset:         56
        .size:           8
        .value_kind:     global_buffer
      - .offset:         64
        .size:           8
        .value_kind:     by_value
      - .offset:         72
        .size:           4
        .value_kind:     by_value
      - .offset:         80
        .size:           8
        .value_kind:     by_value
      - .offset:         88
        .size:           8
        .value_kind:     by_value
      - .offset:         96
        .size:           4
        .value_kind:     by_value
    .group_segment_fixed_size: 8192
    .kernarg_segment_align: 8
    .kernarg_segment_size: 100
    .language:       OpenCL C
    .language_version:
      - 2
      - 0
    .max_flat_workgroup_size: 1024
    .name:           _ZL30rocblas_trtri_remainder_kernelILi16E19rocblas_complex_numIfEPKS1_PS1_Ev13rocblas_fill_17rocblas_diagonal_iT1_lillT2_lilli
    .private_segment_fixed_size: 0
    .sgpr_count:     43
    .sgpr_spill_count: 0
    .symbol:         _ZL30rocblas_trtri_remainder_kernelILi16E19rocblas_complex_numIfEPKS1_PS1_Ev13rocblas_fill_17rocblas_diagonal_iT1_lillT2_lilli.kd
    .uniform_work_group_size: 1
    .uses_dynamic_stack: false
    .vgpr_count:     21
    .vgpr_spill_count: 0
    .wavefront_size: 32
    .workgroup_processor_mode: 1
  - .args:
      - .address_space:  global
        .offset:         0
        .size:           8
        .value_kind:     global_buffer
      - .offset:         8
        .size:           4
        .value_kind:     by_value
      - .offset:         12
        .size:           4
        .value_kind:     by_value
      - .offset:         16
        .size:           8
        .value_kind:     by_value
      - .offset:         24
        .size:           4
        .value_kind:     by_value
      - .offset:         32
        .size:           8
        .value_kind:     by_value
      - .address_space:  global
        .offset:         40
        .size:           8
        .value_kind:     global_buffer
      - .offset:         48
        .size:           8
        .value_kind:     by_value
      - .offset:         56
        .size:           8
        .value_kind:     by_value
      - .offset:         64
        .size:           4
        .value_kind:     by_value
      - .offset:         68
        .size:           4
        .value_kind:     by_value
      - .offset:         72
        .size:           4
        .value_kind:     hidden_block_count_x
      - .offset:         76
        .size:           4
        .value_kind:     hidden_block_count_y
      - .offset:         80
        .size:           4
        .value_kind:     hidden_block_count_z
      - .offset:         84
        .size:           2
        .value_kind:     hidden_group_size_x
      - .offset:         86
        .size:           2
        .value_kind:     hidden_group_size_y
      - .offset:         88
        .size:           2
        .value_kind:     hidden_group_size_z
      - .offset:         90
        .size:           2
        .value_kind:     hidden_remainder_x
      - .offset:         92
        .size:           2
        .value_kind:     hidden_remainder_y
      - .offset:         94
        .size:           2
        .value_kind:     hidden_remainder_z
      - .offset:         112
        .size:           8
        .value_kind:     hidden_global_offset_x
      - .offset:         120
        .size:           8
        .value_kind:     hidden_global_offset_y
      - .offset:         128
        .size:           8
        .value_kind:     hidden_global_offset_z
      - .offset:         136
        .size:           2
        .value_kind:     hidden_grid_dims
    .group_segment_fixed_size: 0
    .kernarg_segment_align: 8
    .kernarg_segment_size: 328
    .language:       OpenCL C
    .language_version:
      - 2
      - 0
    .max_flat_workgroup_size: 128
    .name:           _ZL18rocblas_trtri_fillILi128E19rocblas_complex_numIdEPS1_EvP15_rocblas_handle13rocblas_fill_ililT1_llii
    .private_segment_fixed_size: 0
    .sgpr_count:     25
    .sgpr_spill_count: 0
    .symbol:         _ZL18rocblas_trtri_fillILi128E19rocblas_complex_numIdEPS1_EvP15_rocblas_handle13rocblas_fill_ililT1_llii.kd
    .uniform_work_group_size: 1
    .uses_dynamic_stack: false
    .vgpr_count:     26
    .vgpr_spill_count: 0
    .wavefront_size: 32
    .workgroup_processor_mode: 1
  - .args:
      - .offset:         0
        .size:           4
        .value_kind:     by_value
      - .offset:         4
        .size:           4
        .value_kind:     by_value
      - .offset:         8
        .size:           4
        .value_kind:     by_value
      - .address_space:  global
        .offset:         16
        .size:           8
        .value_kind:     global_buffer
      - .offset:         24
        .size:           8
        .value_kind:     by_value
      - .offset:         32
        .size:           4
        .value_kind:     by_value
      - .offset:         40
        .size:           8
        .value_kind:     by_value
      - .offset:         48
        .size:           8
        .value_kind:     by_value
      - .address_space:  global
        .offset:         56
        .size:           8
        .value_kind:     global_buffer
      - .offset:         64
        .size:           8
        .value_kind:     by_value
      - .offset:         72
        .size:           4
        .value_kind:     by_value
      - .offset:         80
        .size:           8
        .value_kind:     by_value
      - .offset:         88
        .size:           8
        .value_kind:     by_value
      - .offset:         96
        .size:           4
        .value_kind:     by_value
    .group_segment_fixed_size: 4096
    .kernarg_segment_align: 8
    .kernarg_segment_size: 100
    .language:       OpenCL C
    .language_version:
      - 2
      - 0
    .max_flat_workgroup_size: 16
    .name:           _ZL26rocblas_trtri_small_kernelILi16E19rocblas_complex_numIdEPKS1_PS1_Ev13rocblas_fill_17rocblas_diagonal_iT1_lillT2_lilli
    .private_segment_fixed_size: 0
    .sgpr_count:     43
    .sgpr_spill_count: 0
    .symbol:         _ZL26rocblas_trtri_small_kernelILi16E19rocblas_complex_numIdEPKS1_PS1_Ev13rocblas_fill_17rocblas_diagonal_iT1_lillT2_lilli.kd
    .uniform_work_group_size: 1
    .uses_dynamic_stack: false
    .vgpr_count:     29
    .vgpr_spill_count: 0
    .wavefront_size: 32
    .workgroup_processor_mode: 1
  - .args:
      - .offset:         0
        .size:           4
        .value_kind:     by_value
      - .offset:         4
        .size:           4
        .value_kind:     by_value
      - .offset:         8
        .size:           4
        .value_kind:     by_value
      - .address_space:  global
        .offset:         16
        .size:           8
        .value_kind:     global_buffer
      - .offset:         24
        .size:           8
        .value_kind:     by_value
      - .offset:         32
        .size:           4
        .value_kind:     by_value
      - .offset:         40
        .size:           8
        .value_kind:     by_value
      - .offset:         48
        .size:           8
        .value_kind:     by_value
      - .address_space:  global
        .offset:         56
        .size:           8
        .value_kind:     global_buffer
      - .offset:         64
        .size:           8
        .value_kind:     by_value
      - .offset:         72
        .size:           4
        .value_kind:     by_value
      - .offset:         80
        .size:           8
        .value_kind:     by_value
      - .offset:         88
        .size:           8
        .value_kind:     by_value
      - .offset:         96
        .size:           4
        .value_kind:     by_value
    .group_segment_fixed_size: 16384
    .kernarg_segment_align: 8
    .kernarg_segment_size: 100
    .language:       OpenCL C
    .language_version:
      - 2
      - 0
    .max_flat_workgroup_size: 256
    .name:           _ZL29rocblas_trtri_diagonal_kernelILi16E19rocblas_complex_numIdEPKS1_PS1_Ev13rocblas_fill_17rocblas_diagonal_iT1_lillT2_lilli
    .private_segment_fixed_size: 0
    .sgpr_count:     42
    .sgpr_spill_count: 0
    .symbol:         _ZL29rocblas_trtri_diagonal_kernelILi16E19rocblas_complex_numIdEPKS1_PS1_Ev13rocblas_fill_17rocblas_diagonal_iT1_lillT2_lilli.kd
    .uniform_work_group_size: 1
    .uses_dynamic_stack: false
    .vgpr_count:     48
    .vgpr_spill_count: 0
    .wavefront_size: 32
    .workgroup_processor_mode: 1
  - .args:
      - .offset:         0
        .size:           4
        .value_kind:     by_value
      - .offset:         4
        .size:           4
        .value_kind:     by_value
      - .offset:         8
        .size:           4
        .value_kind:     by_value
      - .address_space:  global
        .offset:         16
        .size:           8
        .value_kind:     global_buffer
      - .offset:         24
        .size:           8
        .value_kind:     by_value
      - .offset:         32
        .size:           4
        .value_kind:     by_value
      - .offset:         40
        .size:           8
        .value_kind:     by_value
      - .offset:         48
        .size:           8
        .value_kind:     by_value
      - .address_space:  global
        .offset:         56
        .size:           8
        .value_kind:     global_buffer
      - .offset:         64
        .size:           8
        .value_kind:     by_value
      - .offset:         72
        .size:           4
        .value_kind:     by_value
      - .offset:         80
        .size:           8
        .value_kind:     by_value
      - .offset:         88
        .size:           8
        .value_kind:     by_value
      - .offset:         96
        .size:           4
        .value_kind:     by_value
    .group_segment_fixed_size: 16384
    .kernarg_segment_align: 8
    .kernarg_segment_size: 100
    .language:       OpenCL C
    .language_version:
      - 2
      - 0
    .max_flat_workgroup_size: 1024
    .name:           _ZL30rocblas_trtri_remainder_kernelILi16E19rocblas_complex_numIdEPKS1_PS1_Ev13rocblas_fill_17rocblas_diagonal_iT1_lillT2_lilli
    .private_segment_fixed_size: 0
    .sgpr_count:     43
    .sgpr_spill_count: 0
    .symbol:         _ZL30rocblas_trtri_remainder_kernelILi16E19rocblas_complex_numIdEPKS1_PS1_Ev13rocblas_fill_17rocblas_diagonal_iT1_lillT2_lilli.kd
    .uniform_work_group_size: 1
    .uses_dynamic_stack: false
    .vgpr_count:     29
    .vgpr_spill_count: 0
    .wavefront_size: 32
    .workgroup_processor_mode: 1
  - .args:
      - .address_space:  global
        .offset:         0
        .size:           8
        .value_kind:     global_buffer
      - .offset:         8
        .size:           4
        .value_kind:     by_value
      - .offset:         12
        .size:           4
        .value_kind:     by_value
      - .offset:         16
        .size:           8
        .value_kind:     by_value
      - .offset:         24
        .size:           4
        .value_kind:     by_value
      - .offset:         32
        .size:           8
        .value_kind:     by_value
      - .address_space:  global
        .offset:         40
        .size:           8
        .value_kind:     global_buffer
      - .offset:         48
        .size:           8
        .value_kind:     by_value
      - .offset:         56
        .size:           8
        .value_kind:     by_value
      - .offset:         64
        .size:           4
        .value_kind:     by_value
      - .offset:         68
        .size:           4
        .value_kind:     by_value
      - .offset:         72
        .size:           4
        .value_kind:     hidden_block_count_x
      - .offset:         76
        .size:           4
        .value_kind:     hidden_block_count_y
      - .offset:         80
        .size:           4
        .value_kind:     hidden_block_count_z
      - .offset:         84
        .size:           2
        .value_kind:     hidden_group_size_x
      - .offset:         86
        .size:           2
        .value_kind:     hidden_group_size_y
      - .offset:         88
        .size:           2
        .value_kind:     hidden_group_size_z
      - .offset:         90
        .size:           2
        .value_kind:     hidden_remainder_x
      - .offset:         92
        .size:           2
        .value_kind:     hidden_remainder_y
      - .offset:         94
        .size:           2
        .value_kind:     hidden_remainder_z
      - .offset:         112
        .size:           8
        .value_kind:     hidden_global_offset_x
      - .offset:         120
        .size:           8
        .value_kind:     hidden_global_offset_y
      - .offset:         128
        .size:           8
        .value_kind:     hidden_global_offset_z
      - .offset:         136
        .size:           2
        .value_kind:     hidden_grid_dims
    .group_segment_fixed_size: 0
    .kernarg_segment_align: 8
    .kernarg_segment_size: 328
    .language:       OpenCL C
    .language_version:
      - 2
      - 0
    .max_flat_workgroup_size: 128
    .name:           _ZL18rocblas_trtri_fillILi128EfPKPfEvP15_rocblas_handle13rocblas_fill_ililT1_llii
    .private_segment_fixed_size: 0
    .sgpr_count:     25
    .sgpr_spill_count: 0
    .symbol:         _ZL18rocblas_trtri_fillILi128EfPKPfEvP15_rocblas_handle13rocblas_fill_ililT1_llii.kd
    .uniform_work_group_size: 1
    .uses_dynamic_stack: false
    .vgpr_count:     26
    .vgpr_spill_count: 0
    .wavefront_size: 32
    .workgroup_processor_mode: 1
  - .args:
      - .offset:         0
        .size:           4
        .value_kind:     by_value
      - .offset:         4
        .size:           4
        .value_kind:     by_value
      - .offset:         8
        .size:           4
        .value_kind:     by_value
      - .address_space:  global
        .offset:         16
        .size:           8
        .value_kind:     global_buffer
      - .offset:         24
        .size:           8
        .value_kind:     by_value
      - .offset:         32
        .size:           4
        .value_kind:     by_value
      - .offset:         40
        .size:           8
        .value_kind:     by_value
      - .offset:         48
        .size:           8
        .value_kind:     by_value
      - .address_space:  global
        .offset:         56
        .size:           8
        .value_kind:     global_buffer
      - .offset:         64
        .size:           8
        .value_kind:     by_value
      - .offset:         72
        .size:           4
        .value_kind:     by_value
      - .offset:         80
        .size:           8
        .value_kind:     by_value
      - .offset:         88
        .size:           8
        .value_kind:     by_value
      - .offset:         96
        .size:           4
        .value_kind:     by_value
    .group_segment_fixed_size: 1024
    .kernarg_segment_align: 8
    .kernarg_segment_size: 100
    .language:       OpenCL C
    .language_version:
      - 2
      - 0
    .max_flat_workgroup_size: 16
    .name:           _ZL26rocblas_trtri_small_kernelILi16EfPKPKfPKPfEv13rocblas_fill_17rocblas_diagonal_iT1_lillT2_lilli
    .private_segment_fixed_size: 0
    .sgpr_count:     40
    .sgpr_spill_count: 0
    .symbol:         _ZL26rocblas_trtri_small_kernelILi16EfPKPKfPKPfEv13rocblas_fill_17rocblas_diagonal_iT1_lillT2_lilli.kd
    .uniform_work_group_size: 1
    .uses_dynamic_stack: false
    .vgpr_count:     17
    .vgpr_spill_count: 0
    .wavefront_size: 32
    .workgroup_processor_mode: 1
  - .args:
      - .offset:         0
        .size:           4
        .value_kind:     by_value
      - .offset:         4
        .size:           4
        .value_kind:     by_value
      - .offset:         8
        .size:           4
        .value_kind:     by_value
      - .address_space:  global
        .offset:         16
        .size:           8
        .value_kind:     global_buffer
      - .offset:         24
        .size:           8
        .value_kind:     by_value
      - .offset:         32
        .size:           4
        .value_kind:     by_value
      - .offset:         40
        .size:           8
        .value_kind:     by_value
      - .offset:         48
        .size:           8
        .value_kind:     by_value
      - .address_space:  global
        .offset:         56
        .size:           8
        .value_kind:     global_buffer
      - .offset:         64
        .size:           8
        .value_kind:     by_value
      - .offset:         72
        .size:           4
        .value_kind:     by_value
      - .offset:         80
        .size:           8
        .value_kind:     by_value
      - .offset:         88
        .size:           8
        .value_kind:     by_value
      - .offset:         96
        .size:           4
        .value_kind:     by_value
    .group_segment_fixed_size: 4096
    .kernarg_segment_align: 8
    .kernarg_segment_size: 100
    .language:       OpenCL C
    .language_version:
      - 2
      - 0
    .max_flat_workgroup_size: 256
    .name:           _ZL29rocblas_trtri_diagonal_kernelILi16EfPKPKfPKPfEv13rocblas_fill_17rocblas_diagonal_iT1_lillT2_lilli
    .private_segment_fixed_size: 0
    .sgpr_count:     39
    .sgpr_spill_count: 0
    .symbol:         _ZL29rocblas_trtri_diagonal_kernelILi16EfPKPKfPKPfEv13rocblas_fill_17rocblas_diagonal_iT1_lillT2_lilli.kd
    .uniform_work_group_size: 1
    .uses_dynamic_stack: false
    .vgpr_count:     33
    .vgpr_spill_count: 0
    .wavefront_size: 32
    .workgroup_processor_mode: 1
  - .args:
      - .offset:         0
        .size:           4
        .value_kind:     by_value
      - .offset:         4
        .size:           4
        .value_kind:     by_value
      - .offset:         8
        .size:           4
        .value_kind:     by_value
      - .address_space:  global
        .offset:         16
        .size:           8
        .value_kind:     global_buffer
      - .offset:         24
        .size:           8
        .value_kind:     by_value
      - .offset:         32
        .size:           4
        .value_kind:     by_value
      - .offset:         40
        .size:           8
        .value_kind:     by_value
      - .offset:         48
        .size:           8
        .value_kind:     by_value
      - .address_space:  global
        .offset:         56
        .size:           8
        .value_kind:     global_buffer
      - .offset:         64
        .size:           8
        .value_kind:     by_value
      - .offset:         72
        .size:           4
        .value_kind:     by_value
      - .offset:         80
        .size:           8
        .value_kind:     by_value
      - .offset:         88
        .size:           8
        .value_kind:     by_value
      - .offset:         96
        .size:           4
        .value_kind:     by_value
    .group_segment_fixed_size: 4096
    .kernarg_segment_align: 8
    .kernarg_segment_size: 100
    .language:       OpenCL C
    .language_version:
      - 2
      - 0
    .max_flat_workgroup_size: 1024
    .name:           _ZL30rocblas_trtri_remainder_kernelILi16EfPKPKfPKPfEv13rocblas_fill_17rocblas_diagonal_iT1_lillT2_lilli
    .private_segment_fixed_size: 0
    .sgpr_count:     40
    .sgpr_spill_count: 0
    .symbol:         _ZL30rocblas_trtri_remainder_kernelILi16EfPKPKfPKPfEv13rocblas_fill_17rocblas_diagonal_iT1_lillT2_lilli.kd
    .uniform_work_group_size: 1
    .uses_dynamic_stack: false
    .vgpr_count:     17
    .vgpr_spill_count: 0
    .wavefront_size: 32
    .workgroup_processor_mode: 1
  - .args:
      - .address_space:  global
        .offset:         0
        .size:           8
        .value_kind:     global_buffer
      - .offset:         8
        .size:           4
        .value_kind:     by_value
      - .offset:         12
        .size:           4
        .value_kind:     by_value
      - .offset:         16
        .size:           8
        .value_kind:     by_value
      - .offset:         24
        .size:           4
        .value_kind:     by_value
      - .offset:         32
        .size:           8
        .value_kind:     by_value
      - .address_space:  global
        .offset:         40
        .size:           8
        .value_kind:     global_buffer
      - .offset:         48
        .size:           8
        .value_kind:     by_value
      - .offset:         56
        .size:           8
        .value_kind:     by_value
      - .offset:         64
        .size:           4
        .value_kind:     by_value
      - .offset:         68
        .size:           4
        .value_kind:     by_value
      - .offset:         72
        .size:           4
        .value_kind:     hidden_block_count_x
      - .offset:         76
        .size:           4
        .value_kind:     hidden_block_count_y
      - .offset:         80
        .size:           4
        .value_kind:     hidden_block_count_z
      - .offset:         84
        .size:           2
        .value_kind:     hidden_group_size_x
      - .offset:         86
        .size:           2
        .value_kind:     hidden_group_size_y
      - .offset:         88
        .size:           2
        .value_kind:     hidden_group_size_z
      - .offset:         90
        .size:           2
        .value_kind:     hidden_remainder_x
      - .offset:         92
        .size:           2
        .value_kind:     hidden_remainder_y
      - .offset:         94
        .size:           2
        .value_kind:     hidden_remainder_z
      - .offset:         112
        .size:           8
        .value_kind:     hidden_global_offset_x
      - .offset:         120
        .size:           8
        .value_kind:     hidden_global_offset_y
      - .offset:         128
        .size:           8
        .value_kind:     hidden_global_offset_z
      - .offset:         136
        .size:           2
        .value_kind:     hidden_grid_dims
    .group_segment_fixed_size: 0
    .kernarg_segment_align: 8
    .kernarg_segment_size: 328
    .language:       OpenCL C
    .language_version:
      - 2
      - 0
    .max_flat_workgroup_size: 128
    .name:           _ZL18rocblas_trtri_fillILi128EdPKPdEvP15_rocblas_handle13rocblas_fill_ililT1_llii
    .private_segment_fixed_size: 0
    .sgpr_count:     25
    .sgpr_spill_count: 0
    .symbol:         _ZL18rocblas_trtri_fillILi128EdPKPdEvP15_rocblas_handle13rocblas_fill_ililT1_llii.kd
    .uniform_work_group_size: 1
    .uses_dynamic_stack: false
    .vgpr_count:     26
    .vgpr_spill_count: 0
    .wavefront_size: 32
    .workgroup_processor_mode: 1
  - .args:
      - .offset:         0
        .size:           4
        .value_kind:     by_value
      - .offset:         4
        .size:           4
        .value_kind:     by_value
      - .offset:         8
        .size:           4
        .value_kind:     by_value
      - .address_space:  global
        .offset:         16
        .size:           8
        .value_kind:     global_buffer
      - .offset:         24
        .size:           8
        .value_kind:     by_value
      - .offset:         32
        .size:           4
        .value_kind:     by_value
      - .offset:         40
        .size:           8
        .value_kind:     by_value
      - .offset:         48
        .size:           8
        .value_kind:     by_value
      - .address_space:  global
        .offset:         56
        .size:           8
        .value_kind:     global_buffer
      - .offset:         64
        .size:           8
        .value_kind:     by_value
      - .offset:         72
        .size:           4
        .value_kind:     by_value
      - .offset:         80
        .size:           8
        .value_kind:     by_value
      - .offset:         88
        .size:           8
        .value_kind:     by_value
      - .offset:         96
        .size:           4
        .value_kind:     by_value
    .group_segment_fixed_size: 2048
    .kernarg_segment_align: 8
    .kernarg_segment_size: 100
    .language:       OpenCL C
    .language_version:
      - 2
      - 0
    .max_flat_workgroup_size: 16
    .name:           _ZL26rocblas_trtri_small_kernelILi16EdPKPKdPKPdEv13rocblas_fill_17rocblas_diagonal_iT1_lillT2_lilli
    .private_segment_fixed_size: 0
    .sgpr_count:     40
    .sgpr_spill_count: 0
    .symbol:         _ZL26rocblas_trtri_small_kernelILi16EdPKPKdPKPdEv13rocblas_fill_17rocblas_diagonal_iT1_lillT2_lilli.kd
    .uniform_work_group_size: 1
    .uses_dynamic_stack: false
    .vgpr_count:     21
    .vgpr_spill_count: 0
    .wavefront_size: 32
    .workgroup_processor_mode: 1
  - .args:
      - .offset:         0
        .size:           4
        .value_kind:     by_value
      - .offset:         4
        .size:           4
        .value_kind:     by_value
      - .offset:         8
        .size:           4
        .value_kind:     by_value
      - .address_space:  global
        .offset:         16
        .size:           8
        .value_kind:     global_buffer
      - .offset:         24
        .size:           8
        .value_kind:     by_value
      - .offset:         32
        .size:           4
        .value_kind:     by_value
      - .offset:         40
        .size:           8
        .value_kind:     by_value
      - .offset:         48
        .size:           8
        .value_kind:     by_value
      - .address_space:  global
        .offset:         56
        .size:           8
        .value_kind:     global_buffer
      - .offset:         64
        .size:           8
        .value_kind:     by_value
      - .offset:         72
        .size:           4
        .value_kind:     by_value
      - .offset:         80
        .size:           8
        .value_kind:     by_value
      - .offset:         88
        .size:           8
        .value_kind:     by_value
      - .offset:         96
        .size:           4
        .value_kind:     by_value
    .group_segment_fixed_size: 8192
    .kernarg_segment_align: 8
    .kernarg_segment_size: 100
    .language:       OpenCL C
    .language_version:
      - 2
      - 0
    .max_flat_workgroup_size: 256
    .name:           _ZL29rocblas_trtri_diagonal_kernelILi16EdPKPKdPKPdEv13rocblas_fill_17rocblas_diagonal_iT1_lillT2_lilli
    .private_segment_fixed_size: 0
    .sgpr_count:     39
    .sgpr_spill_count: 0
    .symbol:         _ZL29rocblas_trtri_diagonal_kernelILi16EdPKPKdPKPdEv13rocblas_fill_17rocblas_diagonal_iT1_lillT2_lilli.kd
    .uniform_work_group_size: 1
    .uses_dynamic_stack: false
    .vgpr_count:     34
    .vgpr_spill_count: 0
    .wavefront_size: 32
    .workgroup_processor_mode: 1
  - .args:
      - .offset:         0
        .size:           4
        .value_kind:     by_value
      - .offset:         4
        .size:           4
        .value_kind:     by_value
      - .offset:         8
        .size:           4
        .value_kind:     by_value
      - .address_space:  global
        .offset:         16
        .size:           8
        .value_kind:     global_buffer
      - .offset:         24
        .size:           8
        .value_kind:     by_value
      - .offset:         32
        .size:           4
        .value_kind:     by_value
      - .offset:         40
        .size:           8
        .value_kind:     by_value
      - .offset:         48
        .size:           8
        .value_kind:     by_value
      - .address_space:  global
        .offset:         56
        .size:           8
        .value_kind:     global_buffer
      - .offset:         64
        .size:           8
        .value_kind:     by_value
      - .offset:         72
        .size:           4
        .value_kind:     by_value
      - .offset:         80
        .size:           8
        .value_kind:     by_value
      - .offset:         88
        .size:           8
        .value_kind:     by_value
      - .offset:         96
        .size:           4
        .value_kind:     by_value
    .group_segment_fixed_size: 8192
    .kernarg_segment_align: 8
    .kernarg_segment_size: 100
    .language:       OpenCL C
    .language_version:
      - 2
      - 0
    .max_flat_workgroup_size: 1024
    .name:           _ZL30rocblas_trtri_remainder_kernelILi16EdPKPKdPKPdEv13rocblas_fill_17rocblas_diagonal_iT1_lillT2_lilli
    .private_segment_fixed_size: 0
    .sgpr_count:     40
    .sgpr_spill_count: 0
    .symbol:         _ZL30rocblas_trtri_remainder_kernelILi16EdPKPKdPKPdEv13rocblas_fill_17rocblas_diagonal_iT1_lillT2_lilli.kd
    .uniform_work_group_size: 1
    .uses_dynamic_stack: false
    .vgpr_count:     21
    .vgpr_spill_count: 0
    .wavefront_size: 32
    .workgroup_processor_mode: 1
  - .args:
      - .address_space:  global
        .offset:         0
        .size:           8
        .value_kind:     global_buffer
      - .offset:         8
        .size:           4
        .value_kind:     by_value
      - .offset:         12
        .size:           4
        .value_kind:     by_value
      - .offset:         16
        .size:           8
        .value_kind:     by_value
      - .offset:         24
        .size:           4
        .value_kind:     by_value
      - .offset:         32
        .size:           8
        .value_kind:     by_value
      - .address_space:  global
        .offset:         40
        .size:           8
        .value_kind:     global_buffer
      - .offset:         48
        .size:           8
        .value_kind:     by_value
      - .offset:         56
        .size:           8
        .value_kind:     by_value
      - .offset:         64
        .size:           4
        .value_kind:     by_value
      - .offset:         68
        .size:           4
        .value_kind:     by_value
      - .offset:         72
        .size:           4
        .value_kind:     hidden_block_count_x
      - .offset:         76
        .size:           4
        .value_kind:     hidden_block_count_y
      - .offset:         80
        .size:           4
        .value_kind:     hidden_block_count_z
      - .offset:         84
        .size:           2
        .value_kind:     hidden_group_size_x
      - .offset:         86
        .size:           2
        .value_kind:     hidden_group_size_y
      - .offset:         88
        .size:           2
        .value_kind:     hidden_group_size_z
      - .offset:         90
        .size:           2
        .value_kind:     hidden_remainder_x
      - .offset:         92
        .size:           2
        .value_kind:     hidden_remainder_y
      - .offset:         94
        .size:           2
        .value_kind:     hidden_remainder_z
      - .offset:         112
        .size:           8
        .value_kind:     hidden_global_offset_x
      - .offset:         120
        .size:           8
        .value_kind:     hidden_global_offset_y
      - .offset:         128
        .size:           8
        .value_kind:     hidden_global_offset_z
      - .offset:         136
        .size:           2
        .value_kind:     hidden_grid_dims
    .group_segment_fixed_size: 0
    .kernarg_segment_align: 8
    .kernarg_segment_size: 328
    .language:       OpenCL C
    .language_version:
      - 2
      - 0
    .max_flat_workgroup_size: 128
    .name:           _ZL18rocblas_trtri_fillILi128E19rocblas_complex_numIfEPKPS1_EvP15_rocblas_handle13rocblas_fill_ililT1_llii
    .private_segment_fixed_size: 0
    .sgpr_count:     25
    .sgpr_spill_count: 0
    .symbol:         _ZL18rocblas_trtri_fillILi128E19rocblas_complex_numIfEPKPS1_EvP15_rocblas_handle13rocblas_fill_ililT1_llii.kd
    .uniform_work_group_size: 1
    .uses_dynamic_stack: false
    .vgpr_count:     26
    .vgpr_spill_count: 0
    .wavefront_size: 32
    .workgroup_processor_mode: 1
  - .args:
      - .offset:         0
        .size:           4
        .value_kind:     by_value
      - .offset:         4
        .size:           4
        .value_kind:     by_value
      - .offset:         8
        .size:           4
        .value_kind:     by_value
      - .address_space:  global
        .offset:         16
        .size:           8
        .value_kind:     global_buffer
      - .offset:         24
        .size:           8
        .value_kind:     by_value
      - .offset:         32
        .size:           4
        .value_kind:     by_value
      - .offset:         40
        .size:           8
        .value_kind:     by_value
      - .offset:         48
        .size:           8
        .value_kind:     by_value
      - .address_space:  global
        .offset:         56
        .size:           8
        .value_kind:     global_buffer
      - .offset:         64
        .size:           8
        .value_kind:     by_value
      - .offset:         72
        .size:           4
        .value_kind:     by_value
      - .offset:         80
        .size:           8
        .value_kind:     by_value
      - .offset:         88
        .size:           8
        .value_kind:     by_value
      - .offset:         96
        .size:           4
        .value_kind:     by_value
    .group_segment_fixed_size: 2048
    .kernarg_segment_align: 8
    .kernarg_segment_size: 100
    .language:       OpenCL C
    .language_version:
      - 2
      - 0
    .max_flat_workgroup_size: 16
    .name:           _ZL26rocblas_trtri_small_kernelILi16E19rocblas_complex_numIfEPKPKS1_PKPS1_Ev13rocblas_fill_17rocblas_diagonal_iT1_lillT2_lilli
    .private_segment_fixed_size: 0
    .sgpr_count:     40
    .sgpr_spill_count: 0
    .symbol:         _ZL26rocblas_trtri_small_kernelILi16E19rocblas_complex_numIfEPKPKS1_PKPS1_Ev13rocblas_fill_17rocblas_diagonal_iT1_lillT2_lilli.kd
    .uniform_work_group_size: 1
    .uses_dynamic_stack: false
    .vgpr_count:     21
    .vgpr_spill_count: 0
    .wavefront_size: 32
    .workgroup_processor_mode: 1
  - .args:
      - .offset:         0
        .size:           4
        .value_kind:     by_value
      - .offset:         4
        .size:           4
        .value_kind:     by_value
      - .offset:         8
        .size:           4
        .value_kind:     by_value
      - .address_space:  global
        .offset:         16
        .size:           8
        .value_kind:     global_buffer
      - .offset:         24
        .size:           8
        .value_kind:     by_value
      - .offset:         32
        .size:           4
        .value_kind:     by_value
      - .offset:         40
        .size:           8
        .value_kind:     by_value
      - .offset:         48
        .size:           8
        .value_kind:     by_value
      - .address_space:  global
        .offset:         56
        .size:           8
        .value_kind:     global_buffer
      - .offset:         64
        .size:           8
        .value_kind:     by_value
      - .offset:         72
        .size:           4
        .value_kind:     by_value
      - .offset:         80
        .size:           8
        .value_kind:     by_value
      - .offset:         88
        .size:           8
        .value_kind:     by_value
      - .offset:         96
        .size:           4
        .value_kind:     by_value
    .group_segment_fixed_size: 8192
    .kernarg_segment_align: 8
    .kernarg_segment_size: 100
    .language:       OpenCL C
    .language_version:
      - 2
      - 0
    .max_flat_workgroup_size: 256
    .name:           _ZL29rocblas_trtri_diagonal_kernelILi16E19rocblas_complex_numIfEPKPKS1_PKPS1_Ev13rocblas_fill_17rocblas_diagonal_iT1_lillT2_lilli
    .private_segment_fixed_size: 0
    .sgpr_count:     39
    .sgpr_spill_count: 0
    .symbol:         _ZL29rocblas_trtri_diagonal_kernelILi16E19rocblas_complex_numIfEPKPKS1_PKPS1_Ev13rocblas_fill_17rocblas_diagonal_iT1_lillT2_lilli.kd
    .uniform_work_group_size: 1
    .uses_dynamic_stack: false
    .vgpr_count:     55
    .vgpr_spill_count: 0
    .wavefront_size: 32
    .workgroup_processor_mode: 1
  - .args:
      - .offset:         0
        .size:           4
        .value_kind:     by_value
      - .offset:         4
        .size:           4
        .value_kind:     by_value
      - .offset:         8
        .size:           4
        .value_kind:     by_value
      - .address_space:  global
        .offset:         16
        .size:           8
        .value_kind:     global_buffer
      - .offset:         24
        .size:           8
        .value_kind:     by_value
      - .offset:         32
        .size:           4
        .value_kind:     by_value
      - .offset:         40
        .size:           8
        .value_kind:     by_value
      - .offset:         48
        .size:           8
        .value_kind:     by_value
      - .address_space:  global
        .offset:         56
        .size:           8
        .value_kind:     global_buffer
      - .offset:         64
        .size:           8
        .value_kind:     by_value
      - .offset:         72
        .size:           4
        .value_kind:     by_value
      - .offset:         80
        .size:           8
        .value_kind:     by_value
      - .offset:         88
        .size:           8
        .value_kind:     by_value
      - .offset:         96
        .size:           4
        .value_kind:     by_value
    .group_segment_fixed_size: 8192
    .kernarg_segment_align: 8
    .kernarg_segment_size: 100
    .language:       OpenCL C
    .language_version:
      - 2
      - 0
    .max_flat_workgroup_size: 1024
    .name:           _ZL30rocblas_trtri_remainder_kernelILi16E19rocblas_complex_numIfEPKPKS1_PKPS1_Ev13rocblas_fill_17rocblas_diagonal_iT1_lillT2_lilli
    .private_segment_fixed_size: 0
    .sgpr_count:     40
    .sgpr_spill_count: 0
    .symbol:         _ZL30rocblas_trtri_remainder_kernelILi16E19rocblas_complex_numIfEPKPKS1_PKPS1_Ev13rocblas_fill_17rocblas_diagonal_iT1_lillT2_lilli.kd
    .uniform_work_group_size: 1
    .uses_dynamic_stack: false
    .vgpr_count:     21
    .vgpr_spill_count: 0
    .wavefront_size: 32
    .workgroup_processor_mode: 1
  - .args:
      - .address_space:  global
        .offset:         0
        .size:           8
        .value_kind:     global_buffer
      - .offset:         8
        .size:           4
        .value_kind:     by_value
      - .offset:         12
        .size:           4
        .value_kind:     by_value
      - .offset:         16
        .size:           8
        .value_kind:     by_value
      - .offset:         24
        .size:           4
        .value_kind:     by_value
      - .offset:         32
        .size:           8
        .value_kind:     by_value
      - .address_space:  global
        .offset:         40
        .size:           8
        .value_kind:     global_buffer
      - .offset:         48
        .size:           8
        .value_kind:     by_value
      - .offset:         56
        .size:           8
        .value_kind:     by_value
      - .offset:         64
        .size:           4
        .value_kind:     by_value
      - .offset:         68
        .size:           4
        .value_kind:     by_value
      - .offset:         72
        .size:           4
        .value_kind:     hidden_block_count_x
      - .offset:         76
        .size:           4
        .value_kind:     hidden_block_count_y
      - .offset:         80
        .size:           4
        .value_kind:     hidden_block_count_z
      - .offset:         84
        .size:           2
        .value_kind:     hidden_group_size_x
      - .offset:         86
        .size:           2
        .value_kind:     hidden_group_size_y
      - .offset:         88
        .size:           2
        .value_kind:     hidden_group_size_z
      - .offset:         90
        .size:           2
        .value_kind:     hidden_remainder_x
      - .offset:         92
        .size:           2
        .value_kind:     hidden_remainder_y
      - .offset:         94
        .size:           2
        .value_kind:     hidden_remainder_z
      - .offset:         112
        .size:           8
        .value_kind:     hidden_global_offset_x
      - .offset:         120
        .size:           8
        .value_kind:     hidden_global_offset_y
      - .offset:         128
        .size:           8
        .value_kind:     hidden_global_offset_z
      - .offset:         136
        .size:           2
        .value_kind:     hidden_grid_dims
    .group_segment_fixed_size: 0
    .kernarg_segment_align: 8
    .kernarg_segment_size: 328
    .language:       OpenCL C
    .language_version:
      - 2
      - 0
    .max_flat_workgroup_size: 128
    .name:           _ZL18rocblas_trtri_fillILi128E19rocblas_complex_numIdEPKPS1_EvP15_rocblas_handle13rocblas_fill_ililT1_llii
    .private_segment_fixed_size: 0
    .sgpr_count:     25
    .sgpr_spill_count: 0
    .symbol:         _ZL18rocblas_trtri_fillILi128E19rocblas_complex_numIdEPKPS1_EvP15_rocblas_handle13rocblas_fill_ililT1_llii.kd
    .uniform_work_group_size: 1
    .uses_dynamic_stack: false
    .vgpr_count:     26
    .vgpr_spill_count: 0
    .wavefront_size: 32
    .workgroup_processor_mode: 1
  - .args:
      - .offset:         0
        .size:           4
        .value_kind:     by_value
      - .offset:         4
        .size:           4
        .value_kind:     by_value
      - .offset:         8
        .size:           4
        .value_kind:     by_value
      - .address_space:  global
        .offset:         16
        .size:           8
        .value_kind:     global_buffer
      - .offset:         24
        .size:           8
        .value_kind:     by_value
      - .offset:         32
        .size:           4
        .value_kind:     by_value
      - .offset:         40
        .size:           8
        .value_kind:     by_value
      - .offset:         48
        .size:           8
        .value_kind:     by_value
      - .address_space:  global
        .offset:         56
        .size:           8
        .value_kind:     global_buffer
      - .offset:         64
        .size:           8
        .value_kind:     by_value
      - .offset:         72
        .size:           4
        .value_kind:     by_value
      - .offset:         80
        .size:           8
        .value_kind:     by_value
      - .offset:         88
        .size:           8
        .value_kind:     by_value
      - .offset:         96
        .size:           4
        .value_kind:     by_value
    .group_segment_fixed_size: 4096
    .kernarg_segment_align: 8
    .kernarg_segment_size: 100
    .language:       OpenCL C
    .language_version:
      - 2
      - 0
    .max_flat_workgroup_size: 16
    .name:           _ZL26rocblas_trtri_small_kernelILi16E19rocblas_complex_numIdEPKPKS1_PKPS1_Ev13rocblas_fill_17rocblas_diagonal_iT1_lillT2_lilli
    .private_segment_fixed_size: 0
    .sgpr_count:     40
    .sgpr_spill_count: 0
    .symbol:         _ZL26rocblas_trtri_small_kernelILi16E19rocblas_complex_numIdEPKPKS1_PKPS1_Ev13rocblas_fill_17rocblas_diagonal_iT1_lillT2_lilli.kd
    .uniform_work_group_size: 1
    .uses_dynamic_stack: false
    .vgpr_count:     29
    .vgpr_spill_count: 0
    .wavefront_size: 32
    .workgroup_processor_mode: 1
  - .args:
      - .offset:         0
        .size:           4
        .value_kind:     by_value
      - .offset:         4
        .size:           4
        .value_kind:     by_value
      - .offset:         8
        .size:           4
        .value_kind:     by_value
      - .address_space:  global
        .offset:         16
        .size:           8
        .value_kind:     global_buffer
      - .offset:         24
        .size:           8
        .value_kind:     by_value
      - .offset:         32
        .size:           4
        .value_kind:     by_value
      - .offset:         40
        .size:           8
        .value_kind:     by_value
      - .offset:         48
        .size:           8
        .value_kind:     by_value
      - .address_space:  global
        .offset:         56
        .size:           8
        .value_kind:     global_buffer
      - .offset:         64
        .size:           8
        .value_kind:     by_value
      - .offset:         72
        .size:           4
        .value_kind:     by_value
      - .offset:         80
        .size:           8
        .value_kind:     by_value
      - .offset:         88
        .size:           8
        .value_kind:     by_value
      - .offset:         96
        .size:           4
        .value_kind:     by_value
    .group_segment_fixed_size: 16384
    .kernarg_segment_align: 8
    .kernarg_segment_size: 100
    .language:       OpenCL C
    .language_version:
      - 2
      - 0
    .max_flat_workgroup_size: 256
    .name:           _ZL29rocblas_trtri_diagonal_kernelILi16E19rocblas_complex_numIdEPKPKS1_PKPS1_Ev13rocblas_fill_17rocblas_diagonal_iT1_lillT2_lilli
    .private_segment_fixed_size: 0
    .sgpr_count:     39
    .sgpr_spill_count: 0
    .symbol:         _ZL29rocblas_trtri_diagonal_kernelILi16E19rocblas_complex_numIdEPKPKS1_PKPS1_Ev13rocblas_fill_17rocblas_diagonal_iT1_lillT2_lilli.kd
    .uniform_work_group_size: 1
    .uses_dynamic_stack: false
    .vgpr_count:     48
    .vgpr_spill_count: 0
    .wavefront_size: 32
    .workgroup_processor_mode: 1
  - .args:
      - .offset:         0
        .size:           4
        .value_kind:     by_value
      - .offset:         4
        .size:           4
        .value_kind:     by_value
      - .offset:         8
        .size:           4
        .value_kind:     by_value
      - .address_space:  global
        .offset:         16
        .size:           8
        .value_kind:     global_buffer
      - .offset:         24
        .size:           8
        .value_kind:     by_value
      - .offset:         32
        .size:           4
        .value_kind:     by_value
      - .offset:         40
        .size:           8
        .value_kind:     by_value
      - .offset:         48
        .size:           8
        .value_kind:     by_value
      - .address_space:  global
        .offset:         56
        .size:           8
        .value_kind:     global_buffer
      - .offset:         64
        .size:           8
        .value_kind:     by_value
      - .offset:         72
        .size:           4
        .value_kind:     by_value
      - .offset:         80
        .size:           8
        .value_kind:     by_value
      - .offset:         88
        .size:           8
        .value_kind:     by_value
      - .offset:         96
        .size:           4
        .value_kind:     by_value
    .group_segment_fixed_size: 16384
    .kernarg_segment_align: 8
    .kernarg_segment_size: 100
    .language:       OpenCL C
    .language_version:
      - 2
      - 0
    .max_flat_workgroup_size: 1024
    .name:           _ZL30rocblas_trtri_remainder_kernelILi16E19rocblas_complex_numIdEPKPKS1_PKPS1_Ev13rocblas_fill_17rocblas_diagonal_iT1_lillT2_lilli
    .private_segment_fixed_size: 0
    .sgpr_count:     40
    .sgpr_spill_count: 0
    .symbol:         _ZL30rocblas_trtri_remainder_kernelILi16E19rocblas_complex_numIdEPKPKS1_PKPS1_Ev13rocblas_fill_17rocblas_diagonal_iT1_lillT2_lilli.kd
    .uniform_work_group_size: 1
    .uses_dynamic_stack: false
    .vgpr_count:     29
    .vgpr_spill_count: 0
    .wavefront_size: 32
    .workgroup_processor_mode: 1
amdhsa.target:   amdgcn-amd-amdhsa--gfx1100
amdhsa.version:
  - 1
  - 2
...

	.end_amdgpu_metadata
